;; amdgpu-corpus repo=ROCm/rocBLAS kind=compiled arch=gfx906 opt=O3
	.amdgcn_target "amdgcn-amd-amdhsa--gfx906"
	.amdhsa_code_object_version 6
	.section	.text._ZL19rocblas_spmv_kernelILi64ELi16EPKfS1_PfEvbiT1_lT2_llS4_lllS3_lT3_llli,"axG",@progbits,_ZL19rocblas_spmv_kernelILi64ELi16EPKfS1_PfEvbiT1_lT2_llS4_lllS3_lT3_llli,comdat
	.globl	_ZL19rocblas_spmv_kernelILi64ELi16EPKfS1_PfEvbiT1_lT2_llS4_lllS3_lT3_llli ; -- Begin function _ZL19rocblas_spmv_kernelILi64ELi16EPKfS1_PfEvbiT1_lT2_llS4_lllS3_lT3_llli
	.p2align	8
	.type	_ZL19rocblas_spmv_kernelILi64ELi16EPKfS1_PfEvbiT1_lT2_llS4_lllS3_lT3_llli,@function
_ZL19rocblas_spmv_kernelILi64ELi16EPKfS1_PfEvbiT1_lT2_llS4_lllS3_lT3_llli: ; @_ZL19rocblas_spmv_kernelILi64ELi16EPKfS1_PfEvbiT1_lT2_llS4_lllS3_lT3_llli
; %bb.0:
	s_load_dwordx2 s[0:1], s[4:5], 0x94
	s_waitcnt lgkmcnt(0)
	s_lshr_b32 s2, s0, 16
	s_and_b32 s18, s0, 0xffff
	s_and_b32 s1, s1, 0xffff
	s_mul_i32 s0, s2, s18
	s_mul_i32 s0, s0, s1
	s_cmpk_lg_i32 s0, 0x400
	s_cbranch_scc1 .LBB0_26
; %bb.1:
	s_load_dwordx4 s[0:3], s[4:5], 0x8
	s_load_dwordx8 s[8:15], s[4:5], 0x38
	s_load_dwordx2 s[16:17], s[4:5], 0x58
	s_waitcnt lgkmcnt(0)
	s_mul_i32 s3, s3, s7
	s_mul_hi_u32 s19, s2, s7
	s_mul_i32 s2, s2, s7
	s_add_i32 s3, s19, s3
	s_lshl_b64 s[2:3], s[2:3], 2
	s_add_u32 s0, s0, s2
	s_addc_u32 s1, s1, s3
	s_load_dword s27, s[0:1], 0x0
	s_mul_i32 s0, s17, s7
	s_mul_hi_u32 s1, s16, s7
	s_add_i32 s1, s1, s0
	s_mul_i32 s0, s16, s7
	s_lshl_b64 s[0:1], s[0:1], 2
	s_add_u32 s0, s14, s0
	s_addc_u32 s1, s15, s1
	s_load_dword s26, s[0:1], 0x0
	s_waitcnt lgkmcnt(0)
	v_cmp_eq_f32_e64 s[0:1], s27, 0
	v_cmp_eq_f32_e64 s[2:3], s26, 1.0
	s_and_b64 s[0:1], s[0:1], s[2:3]
	s_and_b64 vcc, exec, s[0:1]
	s_cbranch_vccnz .LBB0_26
; %bb.2:
	s_load_dwordx2 s[14:15], s[4:5], 0x78
	s_load_dwordx2 s[20:21], s[4:5], 0x60
	;; [unrolled: 1-line block ×3, first 2 shown]
	s_load_dwordx4 s[0:3], s[4:5], 0x68
	v_mad_u32_u24 v5, v1, s18, v0
	s_waitcnt lgkmcnt(0)
	s_mul_i32 s15, s15, s7
	s_mul_hi_u32 s19, s14, s7
	s_add_i32 s15, s19, s15
	s_mul_i32 s14, s14, s7
	s_lshl_b64 s[14:15], s[14:15], 2
	s_add_u32 s14, s20, s14
	s_addc_u32 s15, s21, s15
	s_lshl_b64 s[0:1], s[0:1], 2
	s_add_u32 s24, s14, s0
	s_addc_u32 s25, s15, s1
	v_cmp_neq_f32_e64 s[0:1], s27, 0
	s_and_b64 vcc, exec, s[0:1]
	v_cmp_gt_u32_e64 s[0:1], 64, v5
	s_cbranch_vccnz .LBB0_7
; %bb.3:
	v_lshl_add_u32 v3, s6, 6, v5
	v_cmp_gt_i32_e32 vcc, s17, v3
	s_and_b64 s[20:21], s[0:1], vcc
	s_mov_b64 s[0:1], 0
	s_mov_b64 s[14:15], 0
                                        ; implicit-def: $vgpr2
                                        ; implicit-def: $vgpr0_vgpr1
	s_and_saveexec_b64 s[18:19], s[20:21]
	s_cbranch_execz .LBB0_8
; %bb.4:
	v_ashrrev_i32_e32 v0, 31, v3
	v_mul_lo_u32 v4, s3, v3
	v_mul_lo_u32 v6, s2, v0
	v_mad_u64_u32 v[0:1], s[14:15], s2, v3, 0
	v_cmp_eq_f32_e64 s[14:15], s26, 0
	v_mov_b32_e32 v2, 0
	v_add3_u32 v1, v1, v6, v4
	s_and_b64 vcc, exec, s[14:15]
	s_cbranch_vccnz .LBB0_6
; %bb.5:
	v_lshlrev_b64 v[2:3], 2, v[0:1]
	v_mov_b32_e32 v4, s25
	v_add_co_u32_e32 v2, vcc, s24, v2
	v_addc_co_u32_e32 v3, vcc, v4, v3, vcc
	global_load_dword v2, v[2:3], off
	s_waitcnt vmcnt(0)
	v_mul_f32_e32 v2, s26, v2
.LBB0_6:
	s_mov_b64 s[14:15], exec
	s_or_b64 exec, exec, s[18:19]
	s_and_b64 vcc, exec, s[0:1]
	s_cbranch_vccnz .LBB0_9
	s_branch .LBB0_24
.LBB0_7:
	s_mov_b64 s[14:15], 0
                                        ; implicit-def: $vgpr2
                                        ; implicit-def: $vgpr0_vgpr1
	s_cbranch_execnz .LBB0_9
	s_branch .LBB0_24
.LBB0_8:
	s_or_b64 exec, exec, s[18:19]
	s_and_b64 vcc, exec, s[0:1]
	s_cbranch_vccz .LBB0_24
.LBB0_9:
	v_lshrrev_b32_e32 v6, 6, v5
	s_lshl_b32 s28, s6, 6
	v_cmp_gt_i32_e32 vcc, s17, v6
	v_mov_b32_e32 v8, 0
	s_and_saveexec_b64 s[18:19], vcc
	s_cbranch_execz .LBB0_19
; %bb.10:
	s_load_dwordx4 s[20:23], s[4:5], 0x20
	s_load_dwordx2 s[0:1], s[4:5], 0x18
	s_load_dwordx2 s[34:35], s[4:5], 0x30
	v_lshrrev_b32_e32 v2, 6, v5
	s_mul_i32 s6, s13, s7
	s_waitcnt lgkmcnt(0)
	s_mul_i32 s4, s23, s7
	s_mul_hi_u32 s5, s22, s7
	s_add_i32 s5, s5, s4
	s_mul_i32 s4, s22, s7
	s_lshl_b64 s[4:5], s[4:5], 2
	s_add_u32 s4, s0, s4
	s_addc_u32 s5, s1, s5
	s_lshl_b64 s[0:1], s[20:21], 2
	s_add_u32 s29, s4, s0
	s_addc_u32 s30, s5, s1
	v_mad_u64_u32 v[0:1], s[0:1], s10, v2, 0
	s_bitcmp1_b32 s16, 0
	s_mov_b32 s23, 0
	s_mov_b32 s22, s17
	s_mul_hi_u32 s13, s12, s7
	s_cselect_b64 s[4:5], -1, 0
	v_mad_u64_u32 v[1:2], s[36:37], s11, v2, v[1:2]
	s_lshl_b64 s[22:23], s[22:23], 1
	s_add_i32 s13, s13, s6
	s_mul_i32 s12, s12, s7
	s_xor_b64 s[20:21], s[4:5], -1
	s_or_b32 s22, s22, 1
	s_lshl_b64 s[6:7], s[12:13], 2
	s_lshl_b64 s[8:9], s[8:9], 2
	s_add_u32 s8, s34, s8
	s_addc_u32 s9, s35, s9
	v_lshlrev_b64 v[0:1], 2, v[0:1]
	s_add_u32 s6, s8, s6
	s_addc_u32 s7, s9, s7
	v_and_or_b32 v7, v5, 63, s28
	v_mov_b32_e32 v2, s7
	v_add_co_u32_e32 v0, vcc, s6, v0
	s_lshl_b64 s[6:7], s[10:11], 6
	v_cmp_gt_i32_e64 s[0:1], s17, v7
	v_addc_co_u32_e32 v1, vcc, v2, v1, vcc
	v_mov_b32_e32 v8, 0
	s_mov_b64 s[8:9], 0
	v_mov_b32_e32 v9, s7
	s_branch .LBB0_13
.LBB0_11:                               ;   in Loop: Header=BB0_13 Depth=1
	v_mul_lo_u32 v12, v4, v10
	v_mul_lo_u32 v11, v3, v11
	v_mad_u64_u32 v[3:4], s[12:13], v3, v10, 0
	v_add3_u32 v4, v4, v11, v12
	v_lshlrev_b64 v[10:11], 1, v[3:4]
	v_ashrrev_i32_e32 v3, 31, v2
	v_and_b32_e32 v4, -4, v10
	v_mov_b32_e32 v10, s30
	v_add_co_u32_e32 v4, vcc, s29, v4
	v_lshlrev_b64 v[2:3], 2, v[2:3]
	v_addc_co_u32_e32 v10, vcc, v10, v11, vcc
	v_add_co_u32_e32 v2, vcc, v4, v2
	v_addc_co_u32_e32 v3, vcc, v10, v3, vcc
	global_load_dword v4, v[2:3], off
	global_load_dword v10, v[0:1], off
	s_waitcnt vmcnt(0)
	v_fmac_f32_e32 v8, v4, v10
.LBB0_12:                               ;   in Loop: Header=BB0_13 Depth=1
	s_or_b64 exec, exec, s[10:11]
	v_add_u32_e32 v6, 16, v6
	v_cmp_le_i32_e32 vcc, s17, v6
	s_or_b64 s[8:9], vcc, s[8:9]
	v_add_co_u32_e32 v0, vcc, s6, v0
	v_addc_co_u32_e32 v1, vcc, v1, v9, vcc
	s_andn2_b64 exec, exec, s[8:9]
	s_cbranch_execz .LBB0_18
.LBB0_13:                               ; =>This Inner Loop Header: Depth=1
	s_and_saveexec_b64 s[10:11], s[0:1]
	s_cbranch_execz .LBB0_12
; %bb.14:                               ;   in Loop: Header=BB0_13 Depth=1
	v_cmp_le_i32_e32 vcc, v7, v6
	s_or_b64 s[34:35], s[20:21], vcc
	v_cmp_ge_i32_e32 vcc, v7, v6
	s_or_b64 s[36:37], s[4:5], vcc
	s_and_b64 vcc, s[34:35], s[36:37]
	v_cndmask_b32_e32 v10, v7, v6, vcc
	s_mov_b64 s[12:13], -1
	v_cndmask_b32_e32 v12, v6, v7, vcc
	v_ashrrev_i32_e32 v11, 31, v10
	s_and_b64 vcc, exec, s[20:21]
                                        ; implicit-def: $vgpr3_vgpr4
                                        ; implicit-def: $vgpr2
	s_cbranch_vccz .LBB0_16
; %bb.15:                               ;   in Loop: Header=BB0_13 Depth=1
	v_mov_b32_e32 v2, s23
	v_sub_co_u32_e32 v3, vcc, s22, v10
	v_subb_co_u32_e32 v4, vcc, v2, v11, vcc
	v_sub_u32_e32 v2, v12, v10
	s_mov_b64 s[12:13], 0
.LBB0_16:                               ;   in Loop: Header=BB0_13 Depth=1
	s_andn2_b64 vcc, exec, s[12:13]
	s_cbranch_vccnz .LBB0_11
; %bb.17:                               ;   in Loop: Header=BB0_13 Depth=1
	v_add_co_u32_e32 v3, vcc, 1, v10
	v_addc_co_u32_e32 v4, vcc, 0, v11, vcc
	v_mov_b32_e32 v2, v12
	s_branch .LBB0_11
.LBB0_18:
	s_or_b64 exec, exec, s[8:9]
.LBB0_19:
	s_or_b64 exec, exec, s[18:19]
	v_add_u32_e32 v4, s28, v5
	v_cmp_gt_u32_e32 vcc, 64, v5
	v_cmp_gt_i32_e64 s[0:1], s17, v4
	v_lshlrev_b32_e32 v3, 2, v5
	s_and_b64 s[4:5], vcc, s[0:1]
	ds_write_b32 v3, v8
	s_waitcnt lgkmcnt(0)
	s_barrier
                                        ; implicit-def: $vgpr2
                                        ; implicit-def: $vgpr0_vgpr1
	s_and_saveexec_b64 s[0:1], s[4:5]
	s_cbranch_execz .LBB0_23
; %bb.20:
	ds_read2st64_b32 v[0:1], v3 offset1:1
	ds_read2st64_b32 v[5:6], v3 offset0:2 offset1:3
	ds_read2st64_b32 v[7:8], v3 offset0:4 offset1:5
	;; [unrolled: 1-line block ×4, first 2 shown]
	s_waitcnt lgkmcnt(4)
	v_add_f32_e32 v0, v0, v1
	s_waitcnt lgkmcnt(3)
	v_add_f32_e32 v0, v5, v0
	v_add_f32_e32 v0, v6, v0
	s_waitcnt lgkmcnt(2)
	v_add_f32_e32 v0, v7, v0
	;; [unrolled: 3-line block ×3, first 2 shown]
	v_add_f32_e32 v2, v10, v0
	ds_read2st64_b32 v[0:1], v3 offset0:10 offset1:11
	ds_read2st64_b32 v[5:6], v3 offset0:12 offset1:13
	;; [unrolled: 1-line block ×3, first 2 shown]
	s_waitcnt lgkmcnt(3)
	v_add_f32_e32 v2, v11, v2
	v_add_f32_e32 v2, v12, v2
	s_waitcnt lgkmcnt(2)
	v_add_f32_e32 v0, v0, v2
	v_add_f32_e32 v0, v1, v0
	s_waitcnt lgkmcnt(1)
	v_add_f32_e32 v0, v5, v0
	v_add_f32_e32 v0, v6, v0
	s_waitcnt lgkmcnt(0)
	v_add_f32_e32 v0, v7, v0
	v_add_f32_e32 v2, v8, v0
	v_ashrrev_i32_e32 v0, 31, v4
	v_mul_lo_u32 v5, s3, v4
	v_mul_lo_u32 v6, s2, v0
	v_mad_u64_u32 v[0:1], s[2:3], s2, v4, 0
	v_cmp_eq_f32_e64 s[2:3], s26, 0
	ds_write_b32 v3, v2
	v_mul_f32_e32 v2, s27, v2
	v_add3_u32 v1, v1, v6, v5
	s_and_b64 vcc, exec, s[2:3]
	s_cbranch_vccnz .LBB0_22
; %bb.21:
	v_lshlrev_b64 v[3:4], 2, v[0:1]
	v_mov_b32_e32 v5, s25
	v_add_co_u32_e32 v3, vcc, s24, v3
	v_addc_co_u32_e32 v4, vcc, v5, v4, vcc
	global_load_dword v3, v[3:4], off
	s_waitcnt vmcnt(0)
	v_fmac_f32_e32 v2, s26, v3
.LBB0_22:
	s_or_b64 s[14:15], s[14:15], exec
.LBB0_23:
	s_or_b64 exec, exec, s[0:1]
.LBB0_24:
	s_and_saveexec_b64 s[0:1], s[14:15]
	s_cbranch_execz .LBB0_26
; %bb.25:
	v_lshlrev_b64 v[0:1], 2, v[0:1]
	v_mov_b32_e32 v3, s25
	v_add_co_u32_e32 v0, vcc, s24, v0
	v_addc_co_u32_e32 v1, vcc, v3, v1, vcc
	global_store_dword v[0:1], v2, off
.LBB0_26:
	s_endpgm
	.section	.rodata,"a",@progbits
	.p2align	6, 0x0
	.amdhsa_kernel _ZL19rocblas_spmv_kernelILi64ELi16EPKfS1_PfEvbiT1_lT2_llS4_lllS3_lT3_llli
		.amdhsa_group_segment_fixed_size 4096
		.amdhsa_private_segment_fixed_size 0
		.amdhsa_kernarg_size 392
		.amdhsa_user_sgpr_count 6
		.amdhsa_user_sgpr_private_segment_buffer 1
		.amdhsa_user_sgpr_dispatch_ptr 0
		.amdhsa_user_sgpr_queue_ptr 0
		.amdhsa_user_sgpr_kernarg_segment_ptr 1
		.amdhsa_user_sgpr_dispatch_id 0
		.amdhsa_user_sgpr_flat_scratch_init 0
		.amdhsa_user_sgpr_private_segment_size 0
		.amdhsa_uses_dynamic_stack 0
		.amdhsa_system_sgpr_private_segment_wavefront_offset 0
		.amdhsa_system_sgpr_workgroup_id_x 1
		.amdhsa_system_sgpr_workgroup_id_y 0
		.amdhsa_system_sgpr_workgroup_id_z 1
		.amdhsa_system_sgpr_workgroup_info 0
		.amdhsa_system_vgpr_workitem_id 1
		.amdhsa_next_free_vgpr 29
		.amdhsa_next_free_sgpr 61
		.amdhsa_reserve_vcc 1
		.amdhsa_reserve_flat_scratch 0
		.amdhsa_float_round_mode_32 0
		.amdhsa_float_round_mode_16_64 0
		.amdhsa_float_denorm_mode_32 3
		.amdhsa_float_denorm_mode_16_64 3
		.amdhsa_dx10_clamp 1
		.amdhsa_ieee_mode 1
		.amdhsa_fp16_overflow 0
		.amdhsa_exception_fp_ieee_invalid_op 0
		.amdhsa_exception_fp_denorm_src 0
		.amdhsa_exception_fp_ieee_div_zero 0
		.amdhsa_exception_fp_ieee_overflow 0
		.amdhsa_exception_fp_ieee_underflow 0
		.amdhsa_exception_fp_ieee_inexact 0
		.amdhsa_exception_int_div_zero 0
	.end_amdhsa_kernel
	.section	.text._ZL19rocblas_spmv_kernelILi64ELi16EPKfS1_PfEvbiT1_lT2_llS4_lllS3_lT3_llli,"axG",@progbits,_ZL19rocblas_spmv_kernelILi64ELi16EPKfS1_PfEvbiT1_lT2_llS4_lllS3_lT3_llli,comdat
.Lfunc_end0:
	.size	_ZL19rocblas_spmv_kernelILi64ELi16EPKfS1_PfEvbiT1_lT2_llS4_lllS3_lT3_llli, .Lfunc_end0-_ZL19rocblas_spmv_kernelILi64ELi16EPKfS1_PfEvbiT1_lT2_llS4_lllS3_lT3_llli
                                        ; -- End function
	.set _ZL19rocblas_spmv_kernelILi64ELi16EPKfS1_PfEvbiT1_lT2_llS4_lllS3_lT3_llli.num_vgpr, 13
	.set _ZL19rocblas_spmv_kernelILi64ELi16EPKfS1_PfEvbiT1_lT2_llS4_lllS3_lT3_llli.num_agpr, 0
	.set _ZL19rocblas_spmv_kernelILi64ELi16EPKfS1_PfEvbiT1_lT2_llS4_lllS3_lT3_llli.numbered_sgpr, 38
	.set _ZL19rocblas_spmv_kernelILi64ELi16EPKfS1_PfEvbiT1_lT2_llS4_lllS3_lT3_llli.num_named_barrier, 0
	.set _ZL19rocblas_spmv_kernelILi64ELi16EPKfS1_PfEvbiT1_lT2_llS4_lllS3_lT3_llli.private_seg_size, 0
	.set _ZL19rocblas_spmv_kernelILi64ELi16EPKfS1_PfEvbiT1_lT2_llS4_lllS3_lT3_llli.uses_vcc, 1
	.set _ZL19rocblas_spmv_kernelILi64ELi16EPKfS1_PfEvbiT1_lT2_llS4_lllS3_lT3_llli.uses_flat_scratch, 0
	.set _ZL19rocblas_spmv_kernelILi64ELi16EPKfS1_PfEvbiT1_lT2_llS4_lllS3_lT3_llli.has_dyn_sized_stack, 0
	.set _ZL19rocblas_spmv_kernelILi64ELi16EPKfS1_PfEvbiT1_lT2_llS4_lllS3_lT3_llli.has_recursion, 0
	.set _ZL19rocblas_spmv_kernelILi64ELi16EPKfS1_PfEvbiT1_lT2_llS4_lllS3_lT3_llli.has_indirect_call, 0
	.section	.AMDGPU.csdata,"",@progbits
; Kernel info:
; codeLenInByte = 1280
; TotalNumSgprs: 42
; NumVgprs: 13
; ScratchSize: 0
; MemoryBound: 0
; FloatMode: 240
; IeeeMode: 1
; LDSByteSize: 4096 bytes/workgroup (compile time only)
; SGPRBlocks: 8
; VGPRBlocks: 7
; NumSGPRsForWavesPerEU: 65
; NumVGPRsForWavesPerEU: 29
; Occupancy: 8
; WaveLimiterHint : 1
; COMPUTE_PGM_RSRC2:SCRATCH_EN: 0
; COMPUTE_PGM_RSRC2:USER_SGPR: 6
; COMPUTE_PGM_RSRC2:TRAP_HANDLER: 0
; COMPUTE_PGM_RSRC2:TGID_X_EN: 1
; COMPUTE_PGM_RSRC2:TGID_Y_EN: 0
; COMPUTE_PGM_RSRC2:TGID_Z_EN: 1
; COMPUTE_PGM_RSRC2:TIDIG_COMP_CNT: 1
	.section	.text._ZL19rocblas_spmv_kernelILi64ELi16EfPKfPfEvbiT1_lT2_llS4_lllS3_lT3_llli,"axG",@progbits,_ZL19rocblas_spmv_kernelILi64ELi16EfPKfPfEvbiT1_lT2_llS4_lllS3_lT3_llli,comdat
	.globl	_ZL19rocblas_spmv_kernelILi64ELi16EfPKfPfEvbiT1_lT2_llS4_lllS3_lT3_llli ; -- Begin function _ZL19rocblas_spmv_kernelILi64ELi16EfPKfPfEvbiT1_lT2_llS4_lllS3_lT3_llli
	.p2align	8
	.type	_ZL19rocblas_spmv_kernelILi64ELi16EfPKfPfEvbiT1_lT2_llS4_lllS3_lT3_llli,@function
_ZL19rocblas_spmv_kernelILi64ELi16EfPKfPfEvbiT1_lT2_llS4_lllS3_lT3_llli: ; @_ZL19rocblas_spmv_kernelILi64ELi16EfPKfPfEvbiT1_lT2_llS4_lllS3_lT3_llli
; %bb.0:
	s_load_dwordx2 s[0:1], s[4:5], 0x94
	s_waitcnt lgkmcnt(0)
	s_lshr_b32 s2, s0, 16
	s_and_b32 s12, s0, 0xffff
	s_and_b32 s1, s1, 0xffff
	s_mul_i32 s0, s2, s12
	s_mul_i32 s0, s0, s1
	s_cmpk_lg_i32 s0, 0x400
	s_cbranch_scc1 .LBB1_26
; %bb.1:
	s_load_dwordx4 s[8:11], s[4:5], 0x0
	s_load_dword s27, s[4:5], 0x50
	s_waitcnt lgkmcnt(0)
	v_cmp_eq_f32_e64 s[0:1], s10, 0
	v_cmp_eq_f32_e64 s[2:3], s27, 1.0
	s_and_b64 s[0:1], s[0:1], s[2:3]
	s_and_b64 vcc, exec, s[0:1]
	s_cbranch_vccnz .LBB1_26
; %bb.2:
	s_load_dwordx2 s[14:15], s[4:5], 0x78
	s_load_dwordx2 s[16:17], s[4:5], 0x60
	s_load_dwordx4 s[0:3], s[4:5], 0x68
	v_mad_u32_u24 v5, v1, s12, v0
	s_waitcnt lgkmcnt(0)
	s_mul_i32 s11, s15, s7
	s_mul_hi_u32 s13, s14, s7
	s_mul_i32 s14, s14, s7
	s_add_i32 s15, s13, s11
	s_lshl_b64 s[14:15], s[14:15], 2
	s_add_u32 s11, s16, s14
	s_addc_u32 s13, s17, s15
	s_lshl_b64 s[0:1], s[0:1], 2
	s_add_u32 s11, s11, s0
	s_addc_u32 s26, s13, s1
	v_cmp_neq_f32_e64 s[0:1], s10, 0
	s_and_b64 vcc, exec, s[0:1]
	v_cmp_gt_u32_e64 s[0:1], 64, v5
	s_cbranch_vccnz .LBB1_7
; %bb.3:
	v_lshl_add_u32 v3, s6, 6, v5
	v_cmp_gt_i32_e32 vcc, s9, v3
	s_and_b64 s[14:15], s[0:1], vcc
	s_mov_b64 s[0:1], 0
	s_mov_b64 s[16:17], 0
                                        ; implicit-def: $vgpr2
                                        ; implicit-def: $vgpr0_vgpr1
	s_and_saveexec_b64 s[12:13], s[14:15]
	s_cbranch_execz .LBB1_8
; %bb.4:
	v_ashrrev_i32_e32 v0, 31, v3
	v_mul_lo_u32 v4, s3, v3
	v_mul_lo_u32 v6, s2, v0
	v_mad_u64_u32 v[0:1], s[14:15], s2, v3, 0
	v_cmp_eq_f32_e64 s[14:15], s27, 0
	v_mov_b32_e32 v2, 0
	v_add3_u32 v1, v1, v6, v4
	s_and_b64 vcc, exec, s[14:15]
	s_cbranch_vccnz .LBB1_6
; %bb.5:
	v_lshlrev_b64 v[2:3], 2, v[0:1]
	v_mov_b32_e32 v4, s26
	v_add_co_u32_e32 v2, vcc, s11, v2
	v_addc_co_u32_e32 v3, vcc, v4, v3, vcc
	global_load_dword v2, v[2:3], off
	s_waitcnt vmcnt(0)
	v_mul_f32_e32 v2, s27, v2
.LBB1_6:
	s_mov_b64 s[16:17], exec
	s_or_b64 exec, exec, s[12:13]
	s_and_b64 vcc, exec, s[0:1]
	s_cbranch_vccnz .LBB1_9
	s_branch .LBB1_24
.LBB1_7:
	s_mov_b64 s[16:17], 0
                                        ; implicit-def: $vgpr2
                                        ; implicit-def: $vgpr0_vgpr1
	s_cbranch_execnz .LBB1_9
	s_branch .LBB1_24
.LBB1_8:
	s_or_b64 exec, exec, s[12:13]
	s_and_b64 vcc, exec, s[0:1]
	s_cbranch_vccz .LBB1_24
.LBB1_9:
	v_lshrrev_b32_e32 v6, 6, v5
	s_lshl_b32 s28, s6, 6
	v_cmp_gt_i32_e32 vcc, s9, v6
	v_mov_b32_e32 v8, 0
	s_and_saveexec_b64 s[18:19], vcc
	s_cbranch_execz .LBB1_19
; %bb.10:
	s_load_dwordx2 s[0:1], s[4:5], 0x18
	s_load_dwordx4 s[20:23], s[4:5], 0x20
	s_load_dwordx2 s[24:25], s[4:5], 0x30
	s_load_dwordx4 s[12:15], s[4:5], 0x38
	s_load_dwordx2 s[34:35], s[4:5], 0x48
	v_lshrrev_b32_e32 v2, 6, v5
	v_and_or_b32 v7, v5, 63, s28
	v_mov_b32_e32 v8, 0
	s_waitcnt lgkmcnt(0)
	s_mul_i32 s4, s23, s7
	s_mul_hi_u32 s5, s22, s7
	s_add_i32 s5, s5, s4
	s_mul_i32 s4, s22, s7
	s_lshl_b64 s[4:5], s[4:5], 2
	s_add_u32 s4, s0, s4
	s_addc_u32 s5, s1, s5
	s_lshl_b64 s[0:1], s[20:21], 2
	s_add_u32 s29, s4, s0
	s_addc_u32 s30, s5, s1
	v_mad_u64_u32 v[0:1], s[0:1], s14, v2, 0
	s_bitcmp1_b32 s8, 0
	s_mov_b32 s23, 0
	s_mov_b32 s22, s9
	s_mul_i32 s6, s35, s7
	s_mul_hi_u32 s8, s34, s7
	s_cselect_b64 s[4:5], -1, 0
	v_mad_u64_u32 v[1:2], s[36:37], s15, v2, v[1:2]
	s_lshl_b64 s[22:23], s[22:23], 1
	s_add_i32 s35, s8, s6
	s_mul_i32 s34, s34, s7
	s_xor_b64 s[20:21], s[4:5], -1
	s_or_b32 s22, s22, 1
	s_lshl_b64 s[6:7], s[34:35], 2
	s_lshl_b64 s[12:13], s[12:13], 2
	s_add_u32 s8, s24, s12
	s_addc_u32 s12, s25, s13
	v_lshlrev_b64 v[0:1], 2, v[0:1]
	s_add_u32 s6, s8, s6
	s_addc_u32 s7, s12, s7
	v_mov_b32_e32 v2, s7
	v_add_co_u32_e32 v0, vcc, s6, v0
	s_lshl_b64 s[6:7], s[14:15], 6
	v_cmp_gt_i32_e64 s[0:1], s9, v7
	v_addc_co_u32_e32 v1, vcc, v2, v1, vcc
	s_mov_b64 s[12:13], 0
	v_mov_b32_e32 v9, s7
	s_branch .LBB1_13
.LBB1_11:                               ;   in Loop: Header=BB1_13 Depth=1
	v_mul_lo_u32 v12, v4, v10
	v_mul_lo_u32 v11, v3, v11
	v_mad_u64_u32 v[3:4], s[24:25], v3, v10, 0
	v_add3_u32 v4, v4, v11, v12
	v_lshlrev_b64 v[10:11], 1, v[3:4]
	v_ashrrev_i32_e32 v3, 31, v2
	v_and_b32_e32 v4, -4, v10
	v_mov_b32_e32 v10, s30
	v_add_co_u32_e32 v4, vcc, s29, v4
	v_lshlrev_b64 v[2:3], 2, v[2:3]
	v_addc_co_u32_e32 v10, vcc, v10, v11, vcc
	v_add_co_u32_e32 v2, vcc, v4, v2
	v_addc_co_u32_e32 v3, vcc, v10, v3, vcc
	global_load_dword v4, v[2:3], off
	global_load_dword v10, v[0:1], off
	s_waitcnt vmcnt(0)
	v_fmac_f32_e32 v8, v4, v10
.LBB1_12:                               ;   in Loop: Header=BB1_13 Depth=1
	s_or_b64 exec, exec, s[14:15]
	v_add_u32_e32 v6, 16, v6
	v_cmp_le_i32_e32 vcc, s9, v6
	s_or_b64 s[12:13], vcc, s[12:13]
	v_add_co_u32_e32 v0, vcc, s6, v0
	v_addc_co_u32_e32 v1, vcc, v1, v9, vcc
	s_andn2_b64 exec, exec, s[12:13]
	s_cbranch_execz .LBB1_18
.LBB1_13:                               ; =>This Inner Loop Header: Depth=1
	s_and_saveexec_b64 s[14:15], s[0:1]
	s_cbranch_execz .LBB1_12
; %bb.14:                               ;   in Loop: Header=BB1_13 Depth=1
	v_cmp_le_i32_e32 vcc, v7, v6
	s_or_b64 s[34:35], s[20:21], vcc
	v_cmp_ge_i32_e32 vcc, v7, v6
	s_or_b64 s[36:37], s[4:5], vcc
	s_and_b64 vcc, s[34:35], s[36:37]
	v_cndmask_b32_e32 v10, v7, v6, vcc
	s_mov_b64 s[24:25], -1
	v_cndmask_b32_e32 v12, v6, v7, vcc
	v_ashrrev_i32_e32 v11, 31, v10
	s_and_b64 vcc, exec, s[20:21]
                                        ; implicit-def: $vgpr3_vgpr4
                                        ; implicit-def: $vgpr2
	s_cbranch_vccz .LBB1_16
; %bb.15:                               ;   in Loop: Header=BB1_13 Depth=1
	v_mov_b32_e32 v2, s23
	v_sub_co_u32_e32 v3, vcc, s22, v10
	v_subb_co_u32_e32 v4, vcc, v2, v11, vcc
	v_sub_u32_e32 v2, v12, v10
	s_mov_b64 s[24:25], 0
.LBB1_16:                               ;   in Loop: Header=BB1_13 Depth=1
	s_andn2_b64 vcc, exec, s[24:25]
	s_cbranch_vccnz .LBB1_11
; %bb.17:                               ;   in Loop: Header=BB1_13 Depth=1
	v_add_co_u32_e32 v3, vcc, 1, v10
	v_addc_co_u32_e32 v4, vcc, 0, v11, vcc
	v_mov_b32_e32 v2, v12
	s_branch .LBB1_11
.LBB1_18:
	s_or_b64 exec, exec, s[12:13]
.LBB1_19:
	s_or_b64 exec, exec, s[18:19]
	v_add_u32_e32 v4, s28, v5
	v_cmp_gt_u32_e32 vcc, 64, v5
	v_cmp_gt_i32_e64 s[0:1], s9, v4
	v_lshlrev_b32_e32 v3, 2, v5
	s_and_b64 s[4:5], vcc, s[0:1]
	ds_write_b32 v3, v8
	s_waitcnt lgkmcnt(0)
	s_barrier
                                        ; implicit-def: $vgpr2
                                        ; implicit-def: $vgpr0_vgpr1
	s_and_saveexec_b64 s[0:1], s[4:5]
	s_cbranch_execz .LBB1_23
; %bb.20:
	ds_read2st64_b32 v[0:1], v3 offset1:1
	ds_read2st64_b32 v[5:6], v3 offset0:2 offset1:3
	ds_read2st64_b32 v[7:8], v3 offset0:4 offset1:5
	ds_read2st64_b32 v[9:10], v3 offset0:6 offset1:7
	ds_read2st64_b32 v[11:12], v3 offset0:8 offset1:9
	s_waitcnt lgkmcnt(4)
	v_add_f32_e32 v0, v0, v1
	s_waitcnt lgkmcnt(3)
	v_add_f32_e32 v0, v5, v0
	v_add_f32_e32 v0, v6, v0
	s_waitcnt lgkmcnt(2)
	v_add_f32_e32 v0, v7, v0
	;; [unrolled: 3-line block ×3, first 2 shown]
	v_add_f32_e32 v2, v10, v0
	ds_read2st64_b32 v[0:1], v3 offset0:10 offset1:11
	ds_read2st64_b32 v[5:6], v3 offset0:12 offset1:13
	;; [unrolled: 1-line block ×3, first 2 shown]
	s_waitcnt lgkmcnt(3)
	v_add_f32_e32 v2, v11, v2
	v_add_f32_e32 v2, v12, v2
	s_waitcnt lgkmcnt(2)
	v_add_f32_e32 v0, v0, v2
	v_add_f32_e32 v0, v1, v0
	;; [unrolled: 3-line block ×4, first 2 shown]
	v_ashrrev_i32_e32 v0, 31, v4
	v_mul_lo_u32 v5, s3, v4
	v_mul_lo_u32 v6, s2, v0
	v_mad_u64_u32 v[0:1], s[2:3], s2, v4, 0
	v_cmp_eq_f32_e64 s[2:3], s27, 0
	ds_write_b32 v3, v2
	v_mul_f32_e32 v2, s10, v2
	v_add3_u32 v1, v1, v6, v5
	s_and_b64 vcc, exec, s[2:3]
	s_cbranch_vccnz .LBB1_22
; %bb.21:
	v_lshlrev_b64 v[3:4], 2, v[0:1]
	v_mov_b32_e32 v5, s26
	v_add_co_u32_e32 v3, vcc, s11, v3
	v_addc_co_u32_e32 v4, vcc, v5, v4, vcc
	global_load_dword v3, v[3:4], off
	s_waitcnt vmcnt(0)
	v_fmac_f32_e32 v2, s27, v3
.LBB1_22:
	s_or_b64 s[16:17], s[16:17], exec
.LBB1_23:
	s_or_b64 exec, exec, s[0:1]
.LBB1_24:
	s_and_saveexec_b64 s[0:1], s[16:17]
	s_cbranch_execz .LBB1_26
; %bb.25:
	v_lshlrev_b64 v[0:1], 2, v[0:1]
	v_mov_b32_e32 v3, s26
	v_add_co_u32_e32 v0, vcc, s11, v0
	v_addc_co_u32_e32 v1, vcc, v3, v1, vcc
	global_store_dword v[0:1], v2, off
.LBB1_26:
	s_endpgm
	.section	.rodata,"a",@progbits
	.p2align	6, 0x0
	.amdhsa_kernel _ZL19rocblas_spmv_kernelILi64ELi16EfPKfPfEvbiT1_lT2_llS4_lllS3_lT3_llli
		.amdhsa_group_segment_fixed_size 4096
		.amdhsa_private_segment_fixed_size 0
		.amdhsa_kernarg_size 392
		.amdhsa_user_sgpr_count 6
		.amdhsa_user_sgpr_private_segment_buffer 1
		.amdhsa_user_sgpr_dispatch_ptr 0
		.amdhsa_user_sgpr_queue_ptr 0
		.amdhsa_user_sgpr_kernarg_segment_ptr 1
		.amdhsa_user_sgpr_dispatch_id 0
		.amdhsa_user_sgpr_flat_scratch_init 0
		.amdhsa_user_sgpr_private_segment_size 0
		.amdhsa_uses_dynamic_stack 0
		.amdhsa_system_sgpr_private_segment_wavefront_offset 0
		.amdhsa_system_sgpr_workgroup_id_x 1
		.amdhsa_system_sgpr_workgroup_id_y 0
		.amdhsa_system_sgpr_workgroup_id_z 1
		.amdhsa_system_sgpr_workgroup_info 0
		.amdhsa_system_vgpr_workitem_id 1
		.amdhsa_next_free_vgpr 29
		.amdhsa_next_free_sgpr 61
		.amdhsa_reserve_vcc 1
		.amdhsa_reserve_flat_scratch 0
		.amdhsa_float_round_mode_32 0
		.amdhsa_float_round_mode_16_64 0
		.amdhsa_float_denorm_mode_32 3
		.amdhsa_float_denorm_mode_16_64 3
		.amdhsa_dx10_clamp 1
		.amdhsa_ieee_mode 1
		.amdhsa_fp16_overflow 0
		.amdhsa_exception_fp_ieee_invalid_op 0
		.amdhsa_exception_fp_denorm_src 0
		.amdhsa_exception_fp_ieee_div_zero 0
		.amdhsa_exception_fp_ieee_overflow 0
		.amdhsa_exception_fp_ieee_underflow 0
		.amdhsa_exception_fp_ieee_inexact 0
		.amdhsa_exception_int_div_zero 0
	.end_amdhsa_kernel
	.section	.text._ZL19rocblas_spmv_kernelILi64ELi16EfPKfPfEvbiT1_lT2_llS4_lllS3_lT3_llli,"axG",@progbits,_ZL19rocblas_spmv_kernelILi64ELi16EfPKfPfEvbiT1_lT2_llS4_lllS3_lT3_llli,comdat
.Lfunc_end1:
	.size	_ZL19rocblas_spmv_kernelILi64ELi16EfPKfPfEvbiT1_lT2_llS4_lllS3_lT3_llli, .Lfunc_end1-_ZL19rocblas_spmv_kernelILi64ELi16EfPKfPfEvbiT1_lT2_llS4_lllS3_lT3_llli
                                        ; -- End function
	.set _ZL19rocblas_spmv_kernelILi64ELi16EfPKfPfEvbiT1_lT2_llS4_lllS3_lT3_llli.num_vgpr, 13
	.set _ZL19rocblas_spmv_kernelILi64ELi16EfPKfPfEvbiT1_lT2_llS4_lllS3_lT3_llli.num_agpr, 0
	.set _ZL19rocblas_spmv_kernelILi64ELi16EfPKfPfEvbiT1_lT2_llS4_lllS3_lT3_llli.numbered_sgpr, 38
	.set _ZL19rocblas_spmv_kernelILi64ELi16EfPKfPfEvbiT1_lT2_llS4_lllS3_lT3_llli.num_named_barrier, 0
	.set _ZL19rocblas_spmv_kernelILi64ELi16EfPKfPfEvbiT1_lT2_llS4_lllS3_lT3_llli.private_seg_size, 0
	.set _ZL19rocblas_spmv_kernelILi64ELi16EfPKfPfEvbiT1_lT2_llS4_lllS3_lT3_llli.uses_vcc, 1
	.set _ZL19rocblas_spmv_kernelILi64ELi16EfPKfPfEvbiT1_lT2_llS4_lllS3_lT3_llli.uses_flat_scratch, 0
	.set _ZL19rocblas_spmv_kernelILi64ELi16EfPKfPfEvbiT1_lT2_llS4_lllS3_lT3_llli.has_dyn_sized_stack, 0
	.set _ZL19rocblas_spmv_kernelILi64ELi16EfPKfPfEvbiT1_lT2_llS4_lllS3_lT3_llli.has_recursion, 0
	.set _ZL19rocblas_spmv_kernelILi64ELi16EfPKfPfEvbiT1_lT2_llS4_lllS3_lT3_llli.has_indirect_call, 0
	.section	.AMDGPU.csdata,"",@progbits
; Kernel info:
; codeLenInByte = 1204
; TotalNumSgprs: 42
; NumVgprs: 13
; ScratchSize: 0
; MemoryBound: 0
; FloatMode: 240
; IeeeMode: 1
; LDSByteSize: 4096 bytes/workgroup (compile time only)
; SGPRBlocks: 8
; VGPRBlocks: 7
; NumSGPRsForWavesPerEU: 65
; NumVGPRsForWavesPerEU: 29
; Occupancy: 8
; WaveLimiterHint : 1
; COMPUTE_PGM_RSRC2:SCRATCH_EN: 0
; COMPUTE_PGM_RSRC2:USER_SGPR: 6
; COMPUTE_PGM_RSRC2:TRAP_HANDLER: 0
; COMPUTE_PGM_RSRC2:TGID_X_EN: 1
; COMPUTE_PGM_RSRC2:TGID_Y_EN: 0
; COMPUTE_PGM_RSRC2:TGID_Z_EN: 1
; COMPUTE_PGM_RSRC2:TIDIG_COMP_CNT: 1
	.section	.text._ZL19rocblas_spmv_kernelILi64ELi16EPKdS1_PdEvbiT1_lT2_llS4_lllS3_lT3_llli,"axG",@progbits,_ZL19rocblas_spmv_kernelILi64ELi16EPKdS1_PdEvbiT1_lT2_llS4_lllS3_lT3_llli,comdat
	.globl	_ZL19rocblas_spmv_kernelILi64ELi16EPKdS1_PdEvbiT1_lT2_llS4_lllS3_lT3_llli ; -- Begin function _ZL19rocblas_spmv_kernelILi64ELi16EPKdS1_PdEvbiT1_lT2_llS4_lllS3_lT3_llli
	.p2align	8
	.type	_ZL19rocblas_spmv_kernelILi64ELi16EPKdS1_PdEvbiT1_lT2_llS4_lllS3_lT3_llli,@function
_ZL19rocblas_spmv_kernelILi64ELi16EPKdS1_PdEvbiT1_lT2_llS4_lllS3_lT3_llli: ; @_ZL19rocblas_spmv_kernelILi64ELi16EPKdS1_PdEvbiT1_lT2_llS4_lllS3_lT3_llli
; %bb.0:
	s_load_dwordx2 s[0:1], s[4:5], 0x94
	s_waitcnt lgkmcnt(0)
	s_lshr_b32 s2, s0, 16
	s_and_b32 s18, s0, 0xffff
	s_and_b32 s1, s1, 0xffff
	s_mul_i32 s0, s2, s18
	s_mul_i32 s0, s0, s1
	s_cmpk_lg_i32 s0, 0x400
	s_cbranch_scc1 .LBB2_26
; %bb.1:
	s_load_dwordx4 s[0:3], s[4:5], 0x8
	s_load_dwordx8 s[8:15], s[4:5], 0x38
	s_load_dwordx2 s[20:21], s[4:5], 0x58
	s_waitcnt lgkmcnt(0)
	s_mul_i32 s3, s3, s7
	s_mul_hi_u32 s16, s2, s7
	s_mul_i32 s2, s2, s7
	s_add_i32 s3, s16, s3
	s_lshl_b64 s[2:3], s[2:3], 3
	s_add_u32 s0, s0, s2
	s_addc_u32 s1, s1, s3
	s_load_dwordx2 s[16:17], s[0:1], 0x0
	s_mul_i32 s0, s21, s7
	s_mul_hi_u32 s1, s20, s7
	s_add_i32 s1, s1, s0
	s_mul_i32 s0, s20, s7
	s_lshl_b64 s[0:1], s[0:1], 3
	s_add_u32 s0, s14, s0
	s_addc_u32 s1, s15, s1
	s_load_dwordx2 s[14:15], s[0:1], 0x0
	s_waitcnt lgkmcnt(0)
	v_cmp_eq_f64_e64 s[0:1], s[16:17], 0
	v_cmp_eq_f64_e64 s[2:3], s[14:15], 1.0
	s_and_b64 s[0:1], s[0:1], s[2:3]
	s_and_b64 vcc, exec, s[0:1]
	s_cbranch_vccnz .LBB2_26
; %bb.2:
	s_load_dwordx2 s[22:23], s[4:5], 0x78
	s_load_dwordx2 s[24:25], s[4:5], 0x60
	;; [unrolled: 1-line block ×3, first 2 shown]
	s_load_dwordx4 s[0:3], s[4:5], 0x68
	v_cmp_neq_f64_e64 s[26:27], s[16:17], 0
	s_waitcnt lgkmcnt(0)
	s_mul_i32 s19, s23, s7
	s_mul_hi_u32 s23, s22, s7
	s_add_i32 s23, s23, s19
	s_mul_i32 s22, s22, s7
	s_lshl_b64 s[22:23], s[22:23], 3
	s_add_u32 s19, s24, s22
	s_addc_u32 s22, s25, s23
	s_lshl_b64 s[0:1], s[0:1], 3
	s_add_u32 s28, s19, s0
	v_mad_u32_u24 v7, v1, s18, v0
	s_addc_u32 s29, s22, s1
	s_mov_b64 s[18:19], 0
	s_and_b64 vcc, exec, s[26:27]
	v_cmp_gt_u32_e64 s[0:1], 64, v7
	s_cbranch_vccnz .LBB2_7
; %bb.3:
	v_lshl_add_u32 v4, s6, 6, v7
	v_cmp_gt_i32_e32 vcc, s21, v4
	s_and_b64 s[24:25], s[0:1], vcc
	s_mov_b64 s[0:1], 0
                                        ; implicit-def: $vgpr0_vgpr1
                                        ; implicit-def: $vgpr2_vgpr3
	s_and_saveexec_b64 s[22:23], s[24:25]
	s_cbranch_execz .LBB2_8
; %bb.4:
	v_cmp_eq_f64_e64 s[18:19], s[14:15], 0
	v_ashrrev_i32_e32 v0, 31, v4
	v_mul_lo_u32 v5, s3, v4
	v_mul_lo_u32 v6, s2, v0
	v_mad_u64_u32 v[2:3], s[24:25], s2, v4, 0
	v_mov_b32_e32 v0, 0
	v_mov_b32_e32 v1, 0
	v_add3_u32 v3, v3, v6, v5
	s_and_b64 vcc, exec, s[18:19]
	s_cbranch_vccnz .LBB2_6
; %bb.5:
	v_lshlrev_b64 v[0:1], 3, v[2:3]
	v_mov_b32_e32 v4, s29
	v_add_co_u32_e32 v0, vcc, s28, v0
	v_addc_co_u32_e32 v1, vcc, v4, v1, vcc
	global_load_dwordx2 v[0:1], v[0:1], off
	s_waitcnt vmcnt(0)
	v_mul_f64 v[0:1], s[14:15], v[0:1]
.LBB2_6:
	s_mov_b64 s[18:19], exec
	s_or_b64 exec, exec, s[22:23]
	s_and_b64 vcc, exec, s[0:1]
	s_cbranch_vccnz .LBB2_9
	s_branch .LBB2_24
.LBB2_7:
                                        ; implicit-def: $vgpr0_vgpr1
                                        ; implicit-def: $vgpr2_vgpr3
	s_cbranch_execnz .LBB2_9
	s_branch .LBB2_24
.LBB2_8:
	s_or_b64 exec, exec, s[22:23]
	s_and_b64 vcc, exec, s[0:1]
	s_cbranch_vccz .LBB2_24
.LBB2_9:
	v_lshrrev_b32_e32 v8, 6, v7
	v_mov_b32_e32 v0, 0
	s_lshl_b32 s30, s6, 6
	v_mov_b32_e32 v1, 0
	v_cmp_gt_i32_e32 vcc, s21, v8
	s_and_saveexec_b64 s[22:23], vcc
	s_cbranch_execz .LBB2_19
; %bb.10:
	s_load_dwordx4 s[24:27], s[4:5], 0x20
	s_load_dwordx2 s[0:1], s[4:5], 0x18
	s_load_dwordx2 s[34:35], s[4:5], 0x30
	v_lshrrev_b32_e32 v2, 6, v7
	s_mul_i32 s6, s13, s7
	s_waitcnt lgkmcnt(0)
	s_mul_i32 s4, s27, s7
	s_mul_hi_u32 s5, s26, s7
	s_add_i32 s5, s5, s4
	s_mul_i32 s4, s26, s7
	s_lshl_b64 s[4:5], s[4:5], 3
	s_add_u32 s4, s0, s4
	s_addc_u32 s5, s1, s5
	s_lshl_b64 s[0:1], s[24:25], 3
	s_add_u32 s31, s4, s0
	s_addc_u32 s33, s5, s1
	v_mad_u64_u32 v[0:1], s[0:1], s10, v2, 0
	s_bitcmp1_b32 s20, 0
	s_mov_b32 s27, 0
	s_mov_b32 s26, s21
	s_mul_hi_u32 s13, s12, s7
	s_cselect_b64 s[4:5], -1, 0
	v_mad_u64_u32 v[1:2], s[36:37], s11, v2, v[1:2]
	s_lshl_b64 s[26:27], s[26:27], 1
	s_add_i32 s13, s13, s6
	s_mul_i32 s12, s12, s7
	s_xor_b64 s[24:25], s[4:5], -1
	s_or_b32 s26, s26, 1
	s_lshl_b64 s[6:7], s[12:13], 3
	s_lshl_b64 s[8:9], s[8:9], 3
	s_add_u32 s8, s34, s8
	s_addc_u32 s9, s35, s9
	v_lshlrev_b64 v[0:1], 3, v[0:1]
	s_add_u32 s6, s8, s6
	s_addc_u32 s7, s9, s7
	v_mov_b32_e32 v3, s7
	v_add_co_u32_e32 v2, vcc, s6, v0
	v_and_or_b32 v9, v7, 63, s30
	v_addc_co_u32_e32 v3, vcc, v3, v1, vcc
	s_lshl_b64 s[6:7], s[10:11], 7
	v_mov_b32_e32 v0, 0
	v_cmp_gt_i32_e64 s[0:1], s21, v9
	v_mov_b32_e32 v1, 0
	s_mov_b64 s[8:9], 0
	v_mov_b32_e32 v10, s7
	s_branch .LBB2_13
.LBB2_11:                               ;   in Loop: Header=BB2_13 Depth=1
	v_mul_lo_u32 v13, v6, v11
	v_mul_lo_u32 v12, v5, v12
	v_mad_u64_u32 v[5:6], s[12:13], v5, v11, 0
	v_add3_u32 v6, v6, v12, v13
	v_lshlrev_b64 v[11:12], 2, v[5:6]
	v_ashrrev_i32_e32 v5, 31, v4
	v_and_b32_e32 v6, -8, v11
	v_mov_b32_e32 v11, s33
	v_add_co_u32_e32 v6, vcc, s31, v6
	v_lshlrev_b64 v[4:5], 3, v[4:5]
	v_addc_co_u32_e32 v11, vcc, v11, v12, vcc
	v_add_co_u32_e32 v4, vcc, v6, v4
	v_addc_co_u32_e32 v5, vcc, v11, v5, vcc
	global_load_dwordx2 v[11:12], v[4:5], off
	global_load_dwordx2 v[13:14], v[2:3], off
	s_waitcnt vmcnt(0)
	v_fma_f64 v[0:1], v[11:12], v[13:14], v[0:1]
.LBB2_12:                               ;   in Loop: Header=BB2_13 Depth=1
	s_or_b64 exec, exec, s[10:11]
	v_add_u32_e32 v8, 16, v8
	v_cmp_le_i32_e32 vcc, s21, v8
	s_or_b64 s[8:9], vcc, s[8:9]
	v_add_co_u32_e32 v2, vcc, s6, v2
	v_addc_co_u32_e32 v3, vcc, v3, v10, vcc
	s_andn2_b64 exec, exec, s[8:9]
	s_cbranch_execz .LBB2_18
.LBB2_13:                               ; =>This Inner Loop Header: Depth=1
	s_and_saveexec_b64 s[10:11], s[0:1]
	s_cbranch_execz .LBB2_12
; %bb.14:                               ;   in Loop: Header=BB2_13 Depth=1
	v_cmp_le_i32_e32 vcc, v9, v8
	s_or_b64 s[34:35], s[24:25], vcc
	v_cmp_ge_i32_e32 vcc, v9, v8
	s_or_b64 s[36:37], s[4:5], vcc
	s_and_b64 vcc, s[34:35], s[36:37]
	v_cndmask_b32_e32 v11, v9, v8, vcc
	s_mov_b64 s[12:13], -1
	v_cndmask_b32_e32 v13, v8, v9, vcc
	v_ashrrev_i32_e32 v12, 31, v11
	s_and_b64 vcc, exec, s[24:25]
                                        ; implicit-def: $vgpr5_vgpr6
                                        ; implicit-def: $vgpr4
	s_cbranch_vccz .LBB2_16
; %bb.15:                               ;   in Loop: Header=BB2_13 Depth=1
	v_mov_b32_e32 v4, s27
	v_sub_co_u32_e32 v5, vcc, s26, v11
	v_subb_co_u32_e32 v6, vcc, v4, v12, vcc
	v_sub_u32_e32 v4, v13, v11
	s_mov_b64 s[12:13], 0
.LBB2_16:                               ;   in Loop: Header=BB2_13 Depth=1
	s_andn2_b64 vcc, exec, s[12:13]
	s_cbranch_vccnz .LBB2_11
; %bb.17:                               ;   in Loop: Header=BB2_13 Depth=1
	v_add_co_u32_e32 v5, vcc, 1, v11
	v_addc_co_u32_e32 v6, vcc, 0, v12, vcc
	v_mov_b32_e32 v4, v13
	s_branch .LBB2_11
.LBB2_18:
	s_or_b64 exec, exec, s[8:9]
.LBB2_19:
	s_or_b64 exec, exec, s[22:23]
	v_add_u32_e32 v5, s30, v7
	v_cmp_gt_u32_e32 vcc, 64, v7
	v_cmp_gt_i32_e64 s[0:1], s21, v5
	v_lshlrev_b32_e32 v4, 3, v7
	s_and_b64 s[4:5], vcc, s[0:1]
	ds_write_b64 v4, v[0:1]
	s_waitcnt lgkmcnt(0)
	s_barrier
                                        ; implicit-def: $vgpr0_vgpr1
                                        ; implicit-def: $vgpr2_vgpr3
	s_and_saveexec_b64 s[0:1], s[4:5]
	s_cbranch_execz .LBB2_23
; %bb.20:
	ds_read2st64_b64 v[0:3], v4 offset1:1
	ds_read2st64_b64 v[6:9], v4 offset0:2 offset1:3
	v_cmp_eq_f64_e64 s[4:5], s[14:15], 0
	s_waitcnt lgkmcnt(1)
	v_add_f64 v[0:1], v[0:1], v[2:3]
	s_and_b64 vcc, exec, s[4:5]
	s_waitcnt lgkmcnt(0)
	v_add_f64 v[0:1], v[6:7], v[0:1]
	v_add_f64 v[10:11], v[8:9], v[0:1]
	ds_read2st64_b64 v[0:3], v4 offset0:4 offset1:5
	ds_read2st64_b64 v[6:9], v4 offset0:6 offset1:7
	s_waitcnt lgkmcnt(1)
	v_add_f64 v[0:1], v[0:1], v[10:11]
	v_add_f64 v[0:1], v[2:3], v[0:1]
	s_waitcnt lgkmcnt(0)
	v_add_f64 v[0:1], v[6:7], v[0:1]
	v_add_f64 v[10:11], v[8:9], v[0:1]
	ds_read2st64_b64 v[0:3], v4 offset0:8 offset1:9
	ds_read2st64_b64 v[6:9], v4 offset0:10 offset1:11
	s_waitcnt lgkmcnt(1)
	v_add_f64 v[0:1], v[0:1], v[10:11]
	v_add_f64 v[0:1], v[2:3], v[0:1]
	;; [unrolled: 8-line block ×3, first 2 shown]
	s_waitcnt lgkmcnt(0)
	v_add_f64 v[0:1], v[6:7], v[0:1]
	v_add_f64 v[6:7], v[8:9], v[0:1]
	v_ashrrev_i32_e32 v0, 31, v5
	v_mul_lo_u32 v9, s2, v0
	v_mul_lo_u32 v8, s3, v5
	v_mad_u64_u32 v[2:3], s[2:3], s2, v5, 0
	v_add3_u32 v3, v3, v9, v8
	v_mul_f64 v[0:1], s[16:17], v[6:7]
	ds_write_b64 v4, v[6:7]
	s_cbranch_vccnz .LBB2_22
; %bb.21:
	v_lshlrev_b64 v[4:5], 3, v[2:3]
	v_mov_b32_e32 v6, s29
	v_add_co_u32_e32 v4, vcc, s28, v4
	v_addc_co_u32_e32 v5, vcc, v6, v5, vcc
	global_load_dwordx2 v[4:5], v[4:5], off
	s_waitcnt vmcnt(0)
	v_fma_f64 v[0:1], s[14:15], v[4:5], v[0:1]
.LBB2_22:
	s_or_b64 s[18:19], s[18:19], exec
.LBB2_23:
	s_or_b64 exec, exec, s[0:1]
.LBB2_24:
	s_and_saveexec_b64 s[0:1], s[18:19]
	s_cbranch_execz .LBB2_26
; %bb.25:
	v_lshlrev_b64 v[2:3], 3, v[2:3]
	v_mov_b32_e32 v4, s29
	v_add_co_u32_e32 v2, vcc, s28, v2
	v_addc_co_u32_e32 v3, vcc, v4, v3, vcc
	global_store_dwordx2 v[2:3], v[0:1], off
.LBB2_26:
	s_endpgm
	.section	.rodata,"a",@progbits
	.p2align	6, 0x0
	.amdhsa_kernel _ZL19rocblas_spmv_kernelILi64ELi16EPKdS1_PdEvbiT1_lT2_llS4_lllS3_lT3_llli
		.amdhsa_group_segment_fixed_size 8192
		.amdhsa_private_segment_fixed_size 0
		.amdhsa_kernarg_size 392
		.amdhsa_user_sgpr_count 6
		.amdhsa_user_sgpr_private_segment_buffer 1
		.amdhsa_user_sgpr_dispatch_ptr 0
		.amdhsa_user_sgpr_queue_ptr 0
		.amdhsa_user_sgpr_kernarg_segment_ptr 1
		.amdhsa_user_sgpr_dispatch_id 0
		.amdhsa_user_sgpr_flat_scratch_init 0
		.amdhsa_user_sgpr_private_segment_size 0
		.amdhsa_uses_dynamic_stack 0
		.amdhsa_system_sgpr_private_segment_wavefront_offset 0
		.amdhsa_system_sgpr_workgroup_id_x 1
		.amdhsa_system_sgpr_workgroup_id_y 0
		.amdhsa_system_sgpr_workgroup_id_z 1
		.amdhsa_system_sgpr_workgroup_info 0
		.amdhsa_system_vgpr_workitem_id 1
		.amdhsa_next_free_vgpr 29
		.amdhsa_next_free_sgpr 61
		.amdhsa_reserve_vcc 1
		.amdhsa_reserve_flat_scratch 0
		.amdhsa_float_round_mode_32 0
		.amdhsa_float_round_mode_16_64 0
		.amdhsa_float_denorm_mode_32 3
		.amdhsa_float_denorm_mode_16_64 3
		.amdhsa_dx10_clamp 1
		.amdhsa_ieee_mode 1
		.amdhsa_fp16_overflow 0
		.amdhsa_exception_fp_ieee_invalid_op 0
		.amdhsa_exception_fp_denorm_src 0
		.amdhsa_exception_fp_ieee_div_zero 0
		.amdhsa_exception_fp_ieee_overflow 0
		.amdhsa_exception_fp_ieee_underflow 0
		.amdhsa_exception_fp_ieee_inexact 0
		.amdhsa_exception_int_div_zero 0
	.end_amdhsa_kernel
	.section	.text._ZL19rocblas_spmv_kernelILi64ELi16EPKdS1_PdEvbiT1_lT2_llS4_lllS3_lT3_llli,"axG",@progbits,_ZL19rocblas_spmv_kernelILi64ELi16EPKdS1_PdEvbiT1_lT2_llS4_lllS3_lT3_llli,comdat
.Lfunc_end2:
	.size	_ZL19rocblas_spmv_kernelILi64ELi16EPKdS1_PdEvbiT1_lT2_llS4_lllS3_lT3_llli, .Lfunc_end2-_ZL19rocblas_spmv_kernelILi64ELi16EPKdS1_PdEvbiT1_lT2_llS4_lllS3_lT3_llli
                                        ; -- End function
	.set _ZL19rocblas_spmv_kernelILi64ELi16EPKdS1_PdEvbiT1_lT2_llS4_lllS3_lT3_llli.num_vgpr, 15
	.set _ZL19rocblas_spmv_kernelILi64ELi16EPKdS1_PdEvbiT1_lT2_llS4_lllS3_lT3_llli.num_agpr, 0
	.set _ZL19rocblas_spmv_kernelILi64ELi16EPKdS1_PdEvbiT1_lT2_llS4_lllS3_lT3_llli.numbered_sgpr, 38
	.set _ZL19rocblas_spmv_kernelILi64ELi16EPKdS1_PdEvbiT1_lT2_llS4_lllS3_lT3_llli.num_named_barrier, 0
	.set _ZL19rocblas_spmv_kernelILi64ELi16EPKdS1_PdEvbiT1_lT2_llS4_lllS3_lT3_llli.private_seg_size, 0
	.set _ZL19rocblas_spmv_kernelILi64ELi16EPKdS1_PdEvbiT1_lT2_llS4_lllS3_lT3_llli.uses_vcc, 1
	.set _ZL19rocblas_spmv_kernelILi64ELi16EPKdS1_PdEvbiT1_lT2_llS4_lllS3_lT3_llli.uses_flat_scratch, 0
	.set _ZL19rocblas_spmv_kernelILi64ELi16EPKdS1_PdEvbiT1_lT2_llS4_lllS3_lT3_llli.has_dyn_sized_stack, 0
	.set _ZL19rocblas_spmv_kernelILi64ELi16EPKdS1_PdEvbiT1_lT2_llS4_lllS3_lT3_llli.has_recursion, 0
	.set _ZL19rocblas_spmv_kernelILi64ELi16EPKdS1_PdEvbiT1_lT2_llS4_lllS3_lT3_llli.has_indirect_call, 0
	.section	.AMDGPU.csdata,"",@progbits
; Kernel info:
; codeLenInByte = 1364
; TotalNumSgprs: 42
; NumVgprs: 15
; ScratchSize: 0
; MemoryBound: 0
; FloatMode: 240
; IeeeMode: 1
; LDSByteSize: 8192 bytes/workgroup (compile time only)
; SGPRBlocks: 8
; VGPRBlocks: 7
; NumSGPRsForWavesPerEU: 65
; NumVGPRsForWavesPerEU: 29
; Occupancy: 8
; WaveLimiterHint : 1
; COMPUTE_PGM_RSRC2:SCRATCH_EN: 0
; COMPUTE_PGM_RSRC2:USER_SGPR: 6
; COMPUTE_PGM_RSRC2:TRAP_HANDLER: 0
; COMPUTE_PGM_RSRC2:TGID_X_EN: 1
; COMPUTE_PGM_RSRC2:TGID_Y_EN: 0
; COMPUTE_PGM_RSRC2:TGID_Z_EN: 1
; COMPUTE_PGM_RSRC2:TIDIG_COMP_CNT: 1
	.section	.text._ZL19rocblas_spmv_kernelILi64ELi16EdPKdPdEvbiT1_lT2_llS4_lllS3_lT3_llli,"axG",@progbits,_ZL19rocblas_spmv_kernelILi64ELi16EdPKdPdEvbiT1_lT2_llS4_lllS3_lT3_llli,comdat
	.globl	_ZL19rocblas_spmv_kernelILi64ELi16EdPKdPdEvbiT1_lT2_llS4_lllS3_lT3_llli ; -- Begin function _ZL19rocblas_spmv_kernelILi64ELi16EdPKdPdEvbiT1_lT2_llS4_lllS3_lT3_llli
	.p2align	8
	.type	_ZL19rocblas_spmv_kernelILi64ELi16EdPKdPdEvbiT1_lT2_llS4_lllS3_lT3_llli,@function
_ZL19rocblas_spmv_kernelILi64ELi16EdPKdPdEvbiT1_lT2_llS4_lllS3_lT3_llli: ; @_ZL19rocblas_spmv_kernelILi64ELi16EdPKdPdEvbiT1_lT2_llS4_lllS3_lT3_llli
; %bb.0:
	s_load_dwordx2 s[0:1], s[4:5], 0x94
	s_waitcnt lgkmcnt(0)
	s_lshr_b32 s2, s0, 16
	s_and_b32 s18, s0, 0xffff
	s_and_b32 s1, s1, 0xffff
	s_mul_i32 s0, s2, s18
	s_mul_i32 s0, s0, s1
	s_cmpk_lg_i32 s0, 0x400
	s_cbranch_scc1 .LBB3_26
; %bb.1:
	s_load_dwordx2 s[16:17], s[4:5], 0x8
	s_load_dwordx8 s[8:15], s[4:5], 0x38
	s_waitcnt lgkmcnt(0)
	v_cmp_eq_f64_e64 s[0:1], s[16:17], 0
	v_cmp_eq_f64_e64 s[2:3], s[14:15], 1.0
	s_and_b64 s[0:1], s[0:1], s[2:3]
	s_and_b64 vcc, exec, s[0:1]
	s_cbranch_vccnz .LBB3_26
; %bb.2:
	s_load_dwordx2 s[22:23], s[4:5], 0x78
	s_load_dwordx2 s[24:25], s[4:5], 0x60
	s_load_dwordx2 s[20:21], s[4:5], 0x0
	s_load_dwordx4 s[0:3], s[4:5], 0x68
	v_cmp_neq_f64_e64 s[26:27], s[16:17], 0
	s_waitcnt lgkmcnt(0)
	s_mul_i32 s19, s23, s7
	s_mul_hi_u32 s23, s22, s7
	s_add_i32 s23, s23, s19
	s_mul_i32 s22, s22, s7
	s_lshl_b64 s[22:23], s[22:23], 3
	s_add_u32 s19, s24, s22
	s_addc_u32 s22, s25, s23
	s_lshl_b64 s[0:1], s[0:1], 3
	s_add_u32 s28, s19, s0
	v_mad_u32_u24 v7, v1, s18, v0
	s_addc_u32 s29, s22, s1
	s_mov_b64 s[18:19], 0
	s_and_b64 vcc, exec, s[26:27]
	v_cmp_gt_u32_e64 s[0:1], 64, v7
	s_cbranch_vccnz .LBB3_7
; %bb.3:
	v_lshl_add_u32 v4, s6, 6, v7
	v_cmp_gt_i32_e32 vcc, s21, v4
	s_and_b64 s[24:25], s[0:1], vcc
	s_mov_b64 s[0:1], 0
                                        ; implicit-def: $vgpr0_vgpr1
                                        ; implicit-def: $vgpr2_vgpr3
	s_and_saveexec_b64 s[22:23], s[24:25]
	s_cbranch_execz .LBB3_8
; %bb.4:
	v_cmp_eq_f64_e64 s[18:19], s[14:15], 0
	v_ashrrev_i32_e32 v0, 31, v4
	v_mul_lo_u32 v5, s3, v4
	v_mul_lo_u32 v6, s2, v0
	v_mad_u64_u32 v[2:3], s[24:25], s2, v4, 0
	v_mov_b32_e32 v0, 0
	v_mov_b32_e32 v1, 0
	v_add3_u32 v3, v3, v6, v5
	s_and_b64 vcc, exec, s[18:19]
	s_cbranch_vccnz .LBB3_6
; %bb.5:
	v_lshlrev_b64 v[0:1], 3, v[2:3]
	v_mov_b32_e32 v4, s29
	v_add_co_u32_e32 v0, vcc, s28, v0
	v_addc_co_u32_e32 v1, vcc, v4, v1, vcc
	global_load_dwordx2 v[0:1], v[0:1], off
	s_waitcnt vmcnt(0)
	v_mul_f64 v[0:1], s[14:15], v[0:1]
.LBB3_6:
	s_mov_b64 s[18:19], exec
	s_or_b64 exec, exec, s[22:23]
	s_and_b64 vcc, exec, s[0:1]
	s_cbranch_vccnz .LBB3_9
	s_branch .LBB3_24
.LBB3_7:
                                        ; implicit-def: $vgpr0_vgpr1
                                        ; implicit-def: $vgpr2_vgpr3
	s_cbranch_execnz .LBB3_9
	s_branch .LBB3_24
.LBB3_8:
	s_or_b64 exec, exec, s[22:23]
	s_and_b64 vcc, exec, s[0:1]
	s_cbranch_vccz .LBB3_24
.LBB3_9:
	v_lshrrev_b32_e32 v8, 6, v7
	v_mov_b32_e32 v0, 0
	s_lshl_b32 s30, s6, 6
	v_mov_b32_e32 v1, 0
	v_cmp_gt_i32_e32 vcc, s21, v8
	s_and_saveexec_b64 s[22:23], vcc
	s_cbranch_execz .LBB3_19
; %bb.10:
	s_load_dwordx4 s[24:27], s[4:5], 0x20
	s_load_dwordx2 s[0:1], s[4:5], 0x18
	s_load_dwordx2 s[36:37], s[4:5], 0x30
	v_lshrrev_b32_e32 v2, 6, v7
	s_mov_b32 s35, 0
	s_waitcnt lgkmcnt(0)
	s_mul_i32 s4, s27, s7
	s_mul_hi_u32 s5, s26, s7
	s_add_i32 s5, s5, s4
	s_mul_i32 s4, s26, s7
	s_lshl_b64 s[4:5], s[4:5], 3
	s_add_u32 s4, s0, s4
	s_addc_u32 s5, s1, s5
	s_lshl_b64 s[0:1], s[24:25], 3
	s_add_u32 s31, s4, s0
	s_addc_u32 s33, s5, s1
	v_mad_u64_u32 v[0:1], s[0:1], s10, v2, 0
	s_bitcmp1_b32 s20, 0
	s_mov_b32 s34, s21
	v_mad_u64_u32 v[1:2], s[26:27], s11, v2, v[1:2]
	s_mul_i32 s6, s13, s7
	s_mul_hi_u32 s13, s12, s7
	s_cselect_b64 s[4:5], -1, 0
	s_lshl_b64 s[26:27], s[34:35], 1
	s_add_i32 s13, s13, s6
	s_mul_i32 s12, s12, s7
	s_xor_b64 s[24:25], s[4:5], -1
	s_or_b32 s26, s26, 1
	s_lshl_b64 s[6:7], s[12:13], 3
	s_lshl_b64 s[8:9], s[8:9], 3
	s_add_u32 s8, s36, s8
	s_addc_u32 s9, s37, s9
	v_lshlrev_b64 v[0:1], 3, v[0:1]
	s_add_u32 s6, s8, s6
	s_addc_u32 s7, s9, s7
	v_mov_b32_e32 v3, s7
	v_add_co_u32_e32 v2, vcc, s6, v0
	v_and_or_b32 v9, v7, 63, s30
	v_addc_co_u32_e32 v3, vcc, v3, v1, vcc
	s_lshl_b64 s[6:7], s[10:11], 7
	v_mov_b32_e32 v0, 0
	v_cmp_gt_i32_e64 s[0:1], s21, v9
	v_mov_b32_e32 v1, 0
	s_mov_b64 s[8:9], 0
	v_mov_b32_e32 v10, s7
	s_branch .LBB3_13
.LBB3_11:                               ;   in Loop: Header=BB3_13 Depth=1
	v_mul_lo_u32 v13, v6, v11
	v_mul_lo_u32 v12, v5, v12
	v_mad_u64_u32 v[5:6], s[12:13], v5, v11, 0
	v_add3_u32 v6, v6, v12, v13
	v_lshlrev_b64 v[11:12], 2, v[5:6]
	v_ashrrev_i32_e32 v5, 31, v4
	v_and_b32_e32 v6, -8, v11
	v_mov_b32_e32 v11, s33
	v_add_co_u32_e32 v6, vcc, s31, v6
	v_lshlrev_b64 v[4:5], 3, v[4:5]
	v_addc_co_u32_e32 v11, vcc, v11, v12, vcc
	v_add_co_u32_e32 v4, vcc, v6, v4
	v_addc_co_u32_e32 v5, vcc, v11, v5, vcc
	global_load_dwordx2 v[11:12], v[4:5], off
	global_load_dwordx2 v[13:14], v[2:3], off
	s_waitcnt vmcnt(0)
	v_fma_f64 v[0:1], v[11:12], v[13:14], v[0:1]
.LBB3_12:                               ;   in Loop: Header=BB3_13 Depth=1
	s_or_b64 exec, exec, s[10:11]
	v_add_u32_e32 v8, 16, v8
	v_cmp_le_i32_e32 vcc, s21, v8
	s_or_b64 s[8:9], vcc, s[8:9]
	v_add_co_u32_e32 v2, vcc, s6, v2
	v_addc_co_u32_e32 v3, vcc, v3, v10, vcc
	s_andn2_b64 exec, exec, s[8:9]
	s_cbranch_execz .LBB3_18
.LBB3_13:                               ; =>This Inner Loop Header: Depth=1
	s_and_saveexec_b64 s[10:11], s[0:1]
	s_cbranch_execz .LBB3_12
; %bb.14:                               ;   in Loop: Header=BB3_13 Depth=1
	v_cmp_le_i32_e32 vcc, v9, v8
	s_or_b64 s[34:35], s[24:25], vcc
	v_cmp_ge_i32_e32 vcc, v9, v8
	s_or_b64 s[36:37], s[4:5], vcc
	s_and_b64 vcc, s[34:35], s[36:37]
	v_cndmask_b32_e32 v11, v9, v8, vcc
	s_mov_b64 s[12:13], -1
	v_cndmask_b32_e32 v13, v8, v9, vcc
	v_ashrrev_i32_e32 v12, 31, v11
	s_and_b64 vcc, exec, s[24:25]
                                        ; implicit-def: $vgpr5_vgpr6
                                        ; implicit-def: $vgpr4
	s_cbranch_vccz .LBB3_16
; %bb.15:                               ;   in Loop: Header=BB3_13 Depth=1
	v_mov_b32_e32 v4, s27
	v_sub_co_u32_e32 v5, vcc, s26, v11
	v_subb_co_u32_e32 v6, vcc, v4, v12, vcc
	v_sub_u32_e32 v4, v13, v11
	s_mov_b64 s[12:13], 0
.LBB3_16:                               ;   in Loop: Header=BB3_13 Depth=1
	s_andn2_b64 vcc, exec, s[12:13]
	s_cbranch_vccnz .LBB3_11
; %bb.17:                               ;   in Loop: Header=BB3_13 Depth=1
	v_add_co_u32_e32 v5, vcc, 1, v11
	v_addc_co_u32_e32 v6, vcc, 0, v12, vcc
	v_mov_b32_e32 v4, v13
	s_branch .LBB3_11
.LBB3_18:
	s_or_b64 exec, exec, s[8:9]
.LBB3_19:
	s_or_b64 exec, exec, s[22:23]
	v_add_u32_e32 v5, s30, v7
	v_cmp_gt_u32_e32 vcc, 64, v7
	v_cmp_gt_i32_e64 s[0:1], s21, v5
	v_lshlrev_b32_e32 v4, 3, v7
	s_and_b64 s[4:5], vcc, s[0:1]
	ds_write_b64 v4, v[0:1]
	s_waitcnt lgkmcnt(0)
	s_barrier
                                        ; implicit-def: $vgpr0_vgpr1
                                        ; implicit-def: $vgpr2_vgpr3
	s_and_saveexec_b64 s[0:1], s[4:5]
	s_cbranch_execz .LBB3_23
; %bb.20:
	ds_read2st64_b64 v[0:3], v4 offset1:1
	ds_read2st64_b64 v[6:9], v4 offset0:2 offset1:3
	v_cmp_eq_f64_e64 s[4:5], s[14:15], 0
	s_waitcnt lgkmcnt(1)
	v_add_f64 v[0:1], v[0:1], v[2:3]
	s_and_b64 vcc, exec, s[4:5]
	s_waitcnt lgkmcnt(0)
	v_add_f64 v[0:1], v[6:7], v[0:1]
	v_add_f64 v[10:11], v[8:9], v[0:1]
	ds_read2st64_b64 v[0:3], v4 offset0:4 offset1:5
	ds_read2st64_b64 v[6:9], v4 offset0:6 offset1:7
	s_waitcnt lgkmcnt(1)
	v_add_f64 v[0:1], v[0:1], v[10:11]
	v_add_f64 v[0:1], v[2:3], v[0:1]
	s_waitcnt lgkmcnt(0)
	v_add_f64 v[0:1], v[6:7], v[0:1]
	v_add_f64 v[10:11], v[8:9], v[0:1]
	ds_read2st64_b64 v[0:3], v4 offset0:8 offset1:9
	ds_read2st64_b64 v[6:9], v4 offset0:10 offset1:11
	s_waitcnt lgkmcnt(1)
	v_add_f64 v[0:1], v[0:1], v[10:11]
	v_add_f64 v[0:1], v[2:3], v[0:1]
	;; [unrolled: 8-line block ×3, first 2 shown]
	s_waitcnt lgkmcnt(0)
	v_add_f64 v[0:1], v[6:7], v[0:1]
	v_add_f64 v[6:7], v[8:9], v[0:1]
	v_ashrrev_i32_e32 v0, 31, v5
	v_mul_lo_u32 v9, s2, v0
	v_mul_lo_u32 v8, s3, v5
	v_mad_u64_u32 v[2:3], s[2:3], s2, v5, 0
	v_add3_u32 v3, v3, v9, v8
	v_mul_f64 v[0:1], s[16:17], v[6:7]
	ds_write_b64 v4, v[6:7]
	s_cbranch_vccnz .LBB3_22
; %bb.21:
	v_lshlrev_b64 v[4:5], 3, v[2:3]
	v_mov_b32_e32 v6, s29
	v_add_co_u32_e32 v4, vcc, s28, v4
	v_addc_co_u32_e32 v5, vcc, v6, v5, vcc
	global_load_dwordx2 v[4:5], v[4:5], off
	s_waitcnt vmcnt(0)
	v_fma_f64 v[0:1], s[14:15], v[4:5], v[0:1]
.LBB3_22:
	s_or_b64 s[18:19], s[18:19], exec
.LBB3_23:
	s_or_b64 exec, exec, s[0:1]
.LBB3_24:
	s_and_saveexec_b64 s[0:1], s[18:19]
	s_cbranch_execz .LBB3_26
; %bb.25:
	v_lshlrev_b64 v[2:3], 3, v[2:3]
	v_mov_b32_e32 v4, s29
	v_add_co_u32_e32 v2, vcc, s28, v2
	v_addc_co_u32_e32 v3, vcc, v4, v3, vcc
	global_store_dwordx2 v[2:3], v[0:1], off
.LBB3_26:
	s_endpgm
	.section	.rodata,"a",@progbits
	.p2align	6, 0x0
	.amdhsa_kernel _ZL19rocblas_spmv_kernelILi64ELi16EdPKdPdEvbiT1_lT2_llS4_lllS3_lT3_llli
		.amdhsa_group_segment_fixed_size 8192
		.amdhsa_private_segment_fixed_size 0
		.amdhsa_kernarg_size 392
		.amdhsa_user_sgpr_count 6
		.amdhsa_user_sgpr_private_segment_buffer 1
		.amdhsa_user_sgpr_dispatch_ptr 0
		.amdhsa_user_sgpr_queue_ptr 0
		.amdhsa_user_sgpr_kernarg_segment_ptr 1
		.amdhsa_user_sgpr_dispatch_id 0
		.amdhsa_user_sgpr_flat_scratch_init 0
		.amdhsa_user_sgpr_private_segment_size 0
		.amdhsa_uses_dynamic_stack 0
		.amdhsa_system_sgpr_private_segment_wavefront_offset 0
		.amdhsa_system_sgpr_workgroup_id_x 1
		.amdhsa_system_sgpr_workgroup_id_y 0
		.amdhsa_system_sgpr_workgroup_id_z 1
		.amdhsa_system_sgpr_workgroup_info 0
		.amdhsa_system_vgpr_workitem_id 1
		.amdhsa_next_free_vgpr 29
		.amdhsa_next_free_sgpr 61
		.amdhsa_reserve_vcc 1
		.amdhsa_reserve_flat_scratch 0
		.amdhsa_float_round_mode_32 0
		.amdhsa_float_round_mode_16_64 0
		.amdhsa_float_denorm_mode_32 3
		.amdhsa_float_denorm_mode_16_64 3
		.amdhsa_dx10_clamp 1
		.amdhsa_ieee_mode 1
		.amdhsa_fp16_overflow 0
		.amdhsa_exception_fp_ieee_invalid_op 0
		.amdhsa_exception_fp_denorm_src 0
		.amdhsa_exception_fp_ieee_div_zero 0
		.amdhsa_exception_fp_ieee_overflow 0
		.amdhsa_exception_fp_ieee_underflow 0
		.amdhsa_exception_fp_ieee_inexact 0
		.amdhsa_exception_int_div_zero 0
	.end_amdhsa_kernel
	.section	.text._ZL19rocblas_spmv_kernelILi64ELi16EdPKdPdEvbiT1_lT2_llS4_lllS3_lT3_llli,"axG",@progbits,_ZL19rocblas_spmv_kernelILi64ELi16EdPKdPdEvbiT1_lT2_llS4_lllS3_lT3_llli,comdat
.Lfunc_end3:
	.size	_ZL19rocblas_spmv_kernelILi64ELi16EdPKdPdEvbiT1_lT2_llS4_lllS3_lT3_llli, .Lfunc_end3-_ZL19rocblas_spmv_kernelILi64ELi16EdPKdPdEvbiT1_lT2_llS4_lllS3_lT3_llli
                                        ; -- End function
	.set _ZL19rocblas_spmv_kernelILi64ELi16EdPKdPdEvbiT1_lT2_llS4_lllS3_lT3_llli.num_vgpr, 15
	.set _ZL19rocblas_spmv_kernelILi64ELi16EdPKdPdEvbiT1_lT2_llS4_lllS3_lT3_llli.num_agpr, 0
	.set _ZL19rocblas_spmv_kernelILi64ELi16EdPKdPdEvbiT1_lT2_llS4_lllS3_lT3_llli.numbered_sgpr, 38
	.set _ZL19rocblas_spmv_kernelILi64ELi16EdPKdPdEvbiT1_lT2_llS4_lllS3_lT3_llli.num_named_barrier, 0
	.set _ZL19rocblas_spmv_kernelILi64ELi16EdPKdPdEvbiT1_lT2_llS4_lllS3_lT3_llli.private_seg_size, 0
	.set _ZL19rocblas_spmv_kernelILi64ELi16EdPKdPdEvbiT1_lT2_llS4_lllS3_lT3_llli.uses_vcc, 1
	.set _ZL19rocblas_spmv_kernelILi64ELi16EdPKdPdEvbiT1_lT2_llS4_lllS3_lT3_llli.uses_flat_scratch, 0
	.set _ZL19rocblas_spmv_kernelILi64ELi16EdPKdPdEvbiT1_lT2_llS4_lllS3_lT3_llli.has_dyn_sized_stack, 0
	.set _ZL19rocblas_spmv_kernelILi64ELi16EdPKdPdEvbiT1_lT2_llS4_lllS3_lT3_llli.has_recursion, 0
	.set _ZL19rocblas_spmv_kernelILi64ELi16EdPKdPdEvbiT1_lT2_llS4_lllS3_lT3_llli.has_indirect_call, 0
	.section	.AMDGPU.csdata,"",@progbits
; Kernel info:
; codeLenInByte = 1280
; TotalNumSgprs: 42
; NumVgprs: 15
; ScratchSize: 0
; MemoryBound: 0
; FloatMode: 240
; IeeeMode: 1
; LDSByteSize: 8192 bytes/workgroup (compile time only)
; SGPRBlocks: 8
; VGPRBlocks: 7
; NumSGPRsForWavesPerEU: 65
; NumVGPRsForWavesPerEU: 29
; Occupancy: 8
; WaveLimiterHint : 1
; COMPUTE_PGM_RSRC2:SCRATCH_EN: 0
; COMPUTE_PGM_RSRC2:USER_SGPR: 6
; COMPUTE_PGM_RSRC2:TRAP_HANDLER: 0
; COMPUTE_PGM_RSRC2:TGID_X_EN: 1
; COMPUTE_PGM_RSRC2:TGID_Y_EN: 0
; COMPUTE_PGM_RSRC2:TGID_Z_EN: 1
; COMPUTE_PGM_RSRC2:TIDIG_COMP_CNT: 1
	.section	.text._ZL19rocblas_spmv_kernelILi64ELi16EPKfPKS1_PKPfEvbiT1_lT2_llS8_lllS7_lT3_llli,"axG",@progbits,_ZL19rocblas_spmv_kernelILi64ELi16EPKfPKS1_PKPfEvbiT1_lT2_llS8_lllS7_lT3_llli,comdat
	.globl	_ZL19rocblas_spmv_kernelILi64ELi16EPKfPKS1_PKPfEvbiT1_lT2_llS8_lllS7_lT3_llli ; -- Begin function _ZL19rocblas_spmv_kernelILi64ELi16EPKfPKS1_PKPfEvbiT1_lT2_llS8_lllS7_lT3_llli
	.p2align	8
	.type	_ZL19rocblas_spmv_kernelILi64ELi16EPKfPKS1_PKPfEvbiT1_lT2_llS8_lllS7_lT3_llli,@function
_ZL19rocblas_spmv_kernelILi64ELi16EPKfPKS1_PKPfEvbiT1_lT2_llS8_lllS7_lT3_llli: ; @_ZL19rocblas_spmv_kernelILi64ELi16EPKfPKS1_PKPfEvbiT1_lT2_llS8_lllS7_lT3_llli
; %bb.0:
	s_load_dwordx2 s[0:1], s[4:5], 0x94
	s_mov_b32 s16, s7
	s_waitcnt lgkmcnt(0)
	s_lshr_b32 s2, s0, 16
	s_and_b32 s7, s0, 0xffff
	s_and_b32 s1, s1, 0xffff
	s_mul_i32 s0, s2, s7
	s_mul_i32 s0, s0, s1
	s_cmpk_lg_i32 s0, 0x400
	s_cbranch_scc1 .LBB4_30
; %bb.1:
	s_load_dwordx4 s[0:3], s[4:5], 0x8
	s_load_dwordx4 s[8:11], s[4:5], 0x50
	s_waitcnt lgkmcnt(0)
	s_mul_i32 s3, s3, s16
	s_mul_hi_u32 s12, s2, s16
	s_mul_i32 s2, s2, s16
	s_add_i32 s3, s12, s3
	s_lshl_b64 s[2:3], s[2:3], 2
	s_add_u32 s0, s0, s2
	s_addc_u32 s1, s1, s3
	s_mul_i32 s11, s11, s16
	s_load_dword s27, s[0:1], 0x0
	s_mul_hi_u32 s0, s10, s16
	s_add_i32 s1, s0, s11
	s_mul_i32 s0, s10, s16
	s_lshl_b64 s[0:1], s[0:1], 2
	s_add_u32 s0, s8, s0
	s_addc_u32 s1, s9, s1
	s_load_dword s26, s[0:1], 0x0
	s_waitcnt lgkmcnt(0)
	v_cmp_eq_f32_e64 s[18:19], s27, 0
	v_cmp_eq_f32_e64 s[0:1], s26, 1.0
	s_and_b64 s[0:1], s[18:19], s[0:1]
	s_and_b64 vcc, exec, s[0:1]
	s_cbranch_vccnz .LBB4_30
; %bb.2:
	s_load_dwordx2 s[20:21], s[4:5], 0x60
	s_mov_b32 s17, 0
	v_cmp_neq_f32_e64 s[0:1], s27, 0
	s_mov_b64 s[14:15], 0
	s_and_b64 vcc, exec, s[18:19]
	s_mov_b64 s[12:13], 0
	s_cbranch_vccnz .LBB4_4
; %bb.3:
	s_load_dwordx4 s[8:11], s[4:5], 0x18
	s_lshl_b64 s[2:3], s[16:17], 3
	s_waitcnt lgkmcnt(0)
	s_add_u32 s2, s8, s2
	s_addc_u32 s3, s9, s3
	s_load_dwordx2 s[2:3], s[2:3], 0x0
	s_lshl_b64 s[8:9], s[10:11], 2
	s_waitcnt lgkmcnt(0)
	s_add_u32 s12, s2, s8
	s_addc_u32 s13, s3, s9
.LBB4_4:
	s_load_dwordx4 s[8:11], s[4:5], 0x38
	s_andn2_b64 vcc, exec, s[0:1]
	s_cbranch_vccnz .LBB4_6
; %bb.5:
	s_load_dwordx2 s[0:1], s[4:5], 0x30
	s_lshl_b64 s[2:3], s[16:17], 3
	s_waitcnt lgkmcnt(0)
	s_add_u32 s0, s0, s2
	s_addc_u32 s1, s1, s3
	s_load_dwordx2 s[0:1], s[0:1], 0x0
	s_lshl_b64 s[2:3], s[8:9], 2
	s_waitcnt lgkmcnt(0)
	s_add_u32 s14, s0, s2
	s_addc_u32 s15, s1, s3
.LBB4_6:
	s_waitcnt lgkmcnt(0)
	s_lshl_b64 s[8:9], s[16:17], 3
	s_load_dwordx4 s[0:3], s[4:5], 0x68
	s_add_u32 s16, s20, s8
	s_addc_u32 s17, s21, s9
	s_load_dwordx2 s[20:21], s[16:17], 0x0
	s_load_dwordx2 s[8:9], s[4:5], 0x0
	v_mad_u32_u24 v5, v1, s7, v0
	s_waitcnt lgkmcnt(0)
	s_lshl_b64 s[0:1], s[0:1], 2
	s_add_u32 s28, s20, s0
	s_addc_u32 s29, s21, s1
	s_andn2_b64 vcc, exec, s[18:19]
	v_cmp_gt_u32_e64 s[0:1], 64, v5
	s_cbranch_vccnz .LBB4_11
; %bb.7:
	v_lshl_add_u32 v3, s6, 6, v5
	v_cmp_gt_i32_e32 vcc, s9, v3
	s_and_b64 s[18:19], s[0:1], vcc
	s_mov_b64 s[0:1], 0
	s_mov_b64 s[4:5], 0
                                        ; implicit-def: $vgpr2
                                        ; implicit-def: $vgpr0_vgpr1
	s_and_saveexec_b64 s[16:17], s[18:19]
	s_cbranch_execz .LBB4_12
; %bb.8:
	v_ashrrev_i32_e32 v0, 31, v3
	v_mul_lo_u32 v4, s3, v3
	v_mul_lo_u32 v6, s2, v0
	v_mad_u64_u32 v[0:1], s[4:5], s2, v3, 0
	v_cmp_eq_f32_e64 s[4:5], s26, 0
	v_mov_b32_e32 v2, 0
	v_add3_u32 v1, v1, v6, v4
	s_and_b64 vcc, exec, s[4:5]
	s_cbranch_vccnz .LBB4_10
; %bb.9:
	v_lshlrev_b64 v[2:3], 2, v[0:1]
	v_mov_b32_e32 v4, s29
	v_add_co_u32_e32 v2, vcc, s28, v2
	v_addc_co_u32_e32 v3, vcc, v4, v3, vcc
	flat_load_dword v2, v[2:3]
	s_waitcnt vmcnt(0) lgkmcnt(0)
	v_mul_f32_e32 v2, s26, v2
.LBB4_10:
	s_mov_b64 s[4:5], exec
	s_or_b64 exec, exec, s[16:17]
	s_and_b64 vcc, exec, s[0:1]
	s_cbranch_vccnz .LBB4_13
	s_branch .LBB4_28
.LBB4_11:
	s_mov_b64 s[4:5], 0
                                        ; implicit-def: $vgpr2
                                        ; implicit-def: $vgpr0_vgpr1
	s_cbranch_execnz .LBB4_13
	s_branch .LBB4_28
.LBB4_12:
	s_or_b64 exec, exec, s[16:17]
	s_and_b64 vcc, exec, s[0:1]
	s_cbranch_vccz .LBB4_28
.LBB4_13:
	v_lshrrev_b32_e32 v6, 6, v5
	s_lshl_b32 s30, s6, 6
	v_cmp_gt_i32_e32 vcc, s9, v6
	v_mov_b32_e32 v8, 0
	s_and_saveexec_b64 s[6:7], vcc
	s_cbranch_execz .LBB4_23
; %bb.14:
	v_lshrrev_b32_e32 v2, 6, v5
	v_mad_u64_u32 v[0:1], s[0:1], s10, v2, 0
	s_bitcmp1_b32 s8, 0
	s_mov_b32 s21, 0
	v_mad_u64_u32 v[1:2], s[22:23], s11, v2, v[1:2]
	s_mov_b32 s20, s9
	v_and_or_b32 v7, v5, 63, s30
	v_lshlrev_b64 v[0:1], 2, v[0:1]
	s_cselect_b64 s[16:17], -1, 0
	s_lshl_b64 s[20:21], s[20:21], 1
	v_mov_b32_e32 v2, s15
	v_add_co_u32_e32 v0, vcc, s14, v0
	s_lshl_b64 s[10:11], s[10:11], 6
	s_xor_b64 s[18:19], s[16:17], -1
	v_cmp_gt_i32_e64 s[0:1], s9, v7
	s_or_b32 s20, s20, 1
	v_addc_co_u32_e32 v1, vcc, v2, v1, vcc
	v_mov_b32_e32 v8, 0
	s_mov_b64 s[14:15], 0
	v_mov_b32_e32 v9, s11
	s_branch .LBB4_17
.LBB4_15:                               ;   in Loop: Header=BB4_17 Depth=1
	v_mul_lo_u32 v12, v4, v10
	v_mul_lo_u32 v11, v3, v11
	v_mad_u64_u32 v[3:4], s[24:25], v3, v10, 0
	v_add3_u32 v4, v4, v11, v12
	v_lshlrev_b64 v[10:11], 1, v[3:4]
	v_ashrrev_i32_e32 v3, 31, v2
	v_and_b32_e32 v4, -4, v10
	v_mov_b32_e32 v10, s13
	v_add_co_u32_e32 v4, vcc, s12, v4
	v_lshlrev_b64 v[2:3], 2, v[2:3]
	v_addc_co_u32_e32 v10, vcc, v10, v11, vcc
	v_add_co_u32_e32 v2, vcc, v4, v2
	v_addc_co_u32_e32 v3, vcc, v10, v3, vcc
	flat_load_dword v4, v[2:3]
	flat_load_dword v10, v[0:1]
	s_waitcnt vmcnt(0) lgkmcnt(0)
	v_fmac_f32_e32 v8, v4, v10
.LBB4_16:                               ;   in Loop: Header=BB4_17 Depth=1
	s_or_b64 exec, exec, s[22:23]
	v_add_u32_e32 v6, 16, v6
	v_cmp_le_i32_e32 vcc, s9, v6
	s_or_b64 s[14:15], vcc, s[14:15]
	v_add_co_u32_e32 v0, vcc, s10, v0
	v_addc_co_u32_e32 v1, vcc, v1, v9, vcc
	s_andn2_b64 exec, exec, s[14:15]
	s_cbranch_execz .LBB4_22
.LBB4_17:                               ; =>This Inner Loop Header: Depth=1
	s_and_saveexec_b64 s[22:23], s[0:1]
	s_cbranch_execz .LBB4_16
; %bb.18:                               ;   in Loop: Header=BB4_17 Depth=1
	v_cmp_le_i32_e32 vcc, v7, v6
	s_or_b64 s[34:35], s[18:19], vcc
	v_cmp_ge_i32_e32 vcc, v7, v6
	s_or_b64 s[36:37], s[16:17], vcc
	s_and_b64 vcc, s[34:35], s[36:37]
	v_cndmask_b32_e32 v10, v7, v6, vcc
	s_mov_b64 s[24:25], -1
	v_cndmask_b32_e32 v12, v6, v7, vcc
	v_ashrrev_i32_e32 v11, 31, v10
	s_and_b64 vcc, exec, s[18:19]
                                        ; implicit-def: $vgpr3_vgpr4
                                        ; implicit-def: $vgpr2
	s_cbranch_vccz .LBB4_20
; %bb.19:                               ;   in Loop: Header=BB4_17 Depth=1
	v_mov_b32_e32 v2, s21
	v_sub_co_u32_e32 v3, vcc, s20, v10
	v_subb_co_u32_e32 v4, vcc, v2, v11, vcc
	v_sub_u32_e32 v2, v12, v10
	s_mov_b64 s[24:25], 0
.LBB4_20:                               ;   in Loop: Header=BB4_17 Depth=1
	s_andn2_b64 vcc, exec, s[24:25]
	s_cbranch_vccnz .LBB4_15
; %bb.21:                               ;   in Loop: Header=BB4_17 Depth=1
	v_add_co_u32_e32 v3, vcc, 1, v10
	v_addc_co_u32_e32 v4, vcc, 0, v11, vcc
	v_mov_b32_e32 v2, v12
	s_branch .LBB4_15
.LBB4_22:
	s_or_b64 exec, exec, s[14:15]
.LBB4_23:
	s_or_b64 exec, exec, s[6:7]
	v_add_u32_e32 v4, s30, v5
	v_cmp_gt_u32_e32 vcc, 64, v5
	v_cmp_gt_i32_e64 s[0:1], s9, v4
	v_lshlrev_b32_e32 v3, 2, v5
	s_and_b64 s[6:7], vcc, s[0:1]
	ds_write_b32 v3, v8
	s_waitcnt lgkmcnt(0)
	s_barrier
                                        ; implicit-def: $vgpr2
                                        ; implicit-def: $vgpr0_vgpr1
	s_and_saveexec_b64 s[0:1], s[6:7]
	s_cbranch_execz .LBB4_27
; %bb.24:
	ds_read2st64_b32 v[0:1], v3 offset1:1
	ds_read2st64_b32 v[5:6], v3 offset0:2 offset1:3
	ds_read2st64_b32 v[7:8], v3 offset0:4 offset1:5
	;; [unrolled: 1-line block ×4, first 2 shown]
	s_waitcnt lgkmcnt(4)
	v_add_f32_e32 v0, v0, v1
	s_waitcnt lgkmcnt(3)
	v_add_f32_e32 v0, v5, v0
	v_add_f32_e32 v0, v6, v0
	s_waitcnt lgkmcnt(2)
	v_add_f32_e32 v0, v7, v0
	;; [unrolled: 3-line block ×3, first 2 shown]
	v_add_f32_e32 v2, v10, v0
	ds_read2st64_b32 v[0:1], v3 offset0:10 offset1:11
	ds_read2st64_b32 v[5:6], v3 offset0:12 offset1:13
	;; [unrolled: 1-line block ×3, first 2 shown]
	s_waitcnt lgkmcnt(3)
	v_add_f32_e32 v2, v11, v2
	v_add_f32_e32 v2, v12, v2
	s_waitcnt lgkmcnt(2)
	v_add_f32_e32 v0, v0, v2
	v_add_f32_e32 v0, v1, v0
	;; [unrolled: 3-line block ×4, first 2 shown]
	v_ashrrev_i32_e32 v0, 31, v4
	v_mul_lo_u32 v5, s3, v4
	v_mul_lo_u32 v6, s2, v0
	v_mad_u64_u32 v[0:1], s[2:3], s2, v4, 0
	v_cmp_eq_f32_e64 s[2:3], s26, 0
	ds_write_b32 v3, v2
	v_mul_f32_e32 v2, s27, v2
	v_add3_u32 v1, v1, v6, v5
	s_and_b64 vcc, exec, s[2:3]
	s_cbranch_vccnz .LBB4_26
; %bb.25:
	v_lshlrev_b64 v[3:4], 2, v[0:1]
	v_mov_b32_e32 v5, s29
	v_add_co_u32_e32 v3, vcc, s28, v3
	v_addc_co_u32_e32 v4, vcc, v5, v4, vcc
	flat_load_dword v3, v[3:4]
	s_waitcnt vmcnt(0) lgkmcnt(0)
	v_fmac_f32_e32 v2, s26, v3
.LBB4_26:
	s_or_b64 s[4:5], s[4:5], exec
.LBB4_27:
	s_or_b64 exec, exec, s[0:1]
.LBB4_28:
	s_and_saveexec_b64 s[0:1], s[4:5]
	s_cbranch_execz .LBB4_30
; %bb.29:
	v_lshlrev_b64 v[0:1], 2, v[0:1]
	v_mov_b32_e32 v3, s29
	v_add_co_u32_e32 v0, vcc, s28, v0
	v_addc_co_u32_e32 v1, vcc, v3, v1, vcc
	flat_store_dword v[0:1], v2
.LBB4_30:
	s_endpgm
	.section	.rodata,"a",@progbits
	.p2align	6, 0x0
	.amdhsa_kernel _ZL19rocblas_spmv_kernelILi64ELi16EPKfPKS1_PKPfEvbiT1_lT2_llS8_lllS7_lT3_llli
		.amdhsa_group_segment_fixed_size 4096
		.amdhsa_private_segment_fixed_size 0
		.amdhsa_kernarg_size 392
		.amdhsa_user_sgpr_count 6
		.amdhsa_user_sgpr_private_segment_buffer 1
		.amdhsa_user_sgpr_dispatch_ptr 0
		.amdhsa_user_sgpr_queue_ptr 0
		.amdhsa_user_sgpr_kernarg_segment_ptr 1
		.amdhsa_user_sgpr_dispatch_id 0
		.amdhsa_user_sgpr_flat_scratch_init 0
		.amdhsa_user_sgpr_private_segment_size 0
		.amdhsa_uses_dynamic_stack 0
		.amdhsa_system_sgpr_private_segment_wavefront_offset 0
		.amdhsa_system_sgpr_workgroup_id_x 1
		.amdhsa_system_sgpr_workgroup_id_y 0
		.amdhsa_system_sgpr_workgroup_id_z 1
		.amdhsa_system_sgpr_workgroup_info 0
		.amdhsa_system_vgpr_workitem_id 1
		.amdhsa_next_free_vgpr 29
		.amdhsa_next_free_sgpr 61
		.amdhsa_reserve_vcc 1
		.amdhsa_reserve_flat_scratch 0
		.amdhsa_float_round_mode_32 0
		.amdhsa_float_round_mode_16_64 0
		.amdhsa_float_denorm_mode_32 3
		.amdhsa_float_denorm_mode_16_64 3
		.amdhsa_dx10_clamp 1
		.amdhsa_ieee_mode 1
		.amdhsa_fp16_overflow 0
		.amdhsa_exception_fp_ieee_invalid_op 0
		.amdhsa_exception_fp_denorm_src 0
		.amdhsa_exception_fp_ieee_div_zero 0
		.amdhsa_exception_fp_ieee_overflow 0
		.amdhsa_exception_fp_ieee_underflow 0
		.amdhsa_exception_fp_ieee_inexact 0
		.amdhsa_exception_int_div_zero 0
	.end_amdhsa_kernel
	.section	.text._ZL19rocblas_spmv_kernelILi64ELi16EPKfPKS1_PKPfEvbiT1_lT2_llS8_lllS7_lT3_llli,"axG",@progbits,_ZL19rocblas_spmv_kernelILi64ELi16EPKfPKS1_PKPfEvbiT1_lT2_llS8_lllS7_lT3_llli,comdat
.Lfunc_end4:
	.size	_ZL19rocblas_spmv_kernelILi64ELi16EPKfPKS1_PKPfEvbiT1_lT2_llS8_lllS7_lT3_llli, .Lfunc_end4-_ZL19rocblas_spmv_kernelILi64ELi16EPKfPKS1_PKPfEvbiT1_lT2_llS8_lllS7_lT3_llli
                                        ; -- End function
	.set _ZL19rocblas_spmv_kernelILi64ELi16EPKfPKS1_PKPfEvbiT1_lT2_llS8_lllS7_lT3_llli.num_vgpr, 13
	.set _ZL19rocblas_spmv_kernelILi64ELi16EPKfPKS1_PKPfEvbiT1_lT2_llS8_lllS7_lT3_llli.num_agpr, 0
	.set _ZL19rocblas_spmv_kernelILi64ELi16EPKfPKS1_PKPfEvbiT1_lT2_llS8_lllS7_lT3_llli.numbered_sgpr, 38
	.set _ZL19rocblas_spmv_kernelILi64ELi16EPKfPKS1_PKPfEvbiT1_lT2_llS8_lllS7_lT3_llli.num_named_barrier, 0
	.set _ZL19rocblas_spmv_kernelILi64ELi16EPKfPKS1_PKPfEvbiT1_lT2_llS8_lllS7_lT3_llli.private_seg_size, 0
	.set _ZL19rocblas_spmv_kernelILi64ELi16EPKfPKS1_PKPfEvbiT1_lT2_llS8_lllS7_lT3_llli.uses_vcc, 1
	.set _ZL19rocblas_spmv_kernelILi64ELi16EPKfPKS1_PKPfEvbiT1_lT2_llS8_lllS7_lT3_llli.uses_flat_scratch, 0
	.set _ZL19rocblas_spmv_kernelILi64ELi16EPKfPKS1_PKPfEvbiT1_lT2_llS8_lllS7_lT3_llli.has_dyn_sized_stack, 0
	.set _ZL19rocblas_spmv_kernelILi64ELi16EPKfPKS1_PKPfEvbiT1_lT2_llS8_lllS7_lT3_llli.has_recursion, 0
	.set _ZL19rocblas_spmv_kernelILi64ELi16EPKfPKS1_PKPfEvbiT1_lT2_llS8_lllS7_lT3_llli.has_indirect_call, 0
	.section	.AMDGPU.csdata,"",@progbits
; Kernel info:
; codeLenInByte = 1288
; TotalNumSgprs: 42
; NumVgprs: 13
; ScratchSize: 0
; MemoryBound: 0
; FloatMode: 240
; IeeeMode: 1
; LDSByteSize: 4096 bytes/workgroup (compile time only)
; SGPRBlocks: 8
; VGPRBlocks: 7
; NumSGPRsForWavesPerEU: 65
; NumVGPRsForWavesPerEU: 29
; Occupancy: 8
; WaveLimiterHint : 1
; COMPUTE_PGM_RSRC2:SCRATCH_EN: 0
; COMPUTE_PGM_RSRC2:USER_SGPR: 6
; COMPUTE_PGM_RSRC2:TRAP_HANDLER: 0
; COMPUTE_PGM_RSRC2:TGID_X_EN: 1
; COMPUTE_PGM_RSRC2:TGID_Y_EN: 0
; COMPUTE_PGM_RSRC2:TGID_Z_EN: 1
; COMPUTE_PGM_RSRC2:TIDIG_COMP_CNT: 1
	.section	.text._ZL19rocblas_spmv_kernelILi64ELi16EfPKPKfPKPfEvbiT1_lT2_llS8_lllS7_lT3_llli,"axG",@progbits,_ZL19rocblas_spmv_kernelILi64ELi16EfPKPKfPKPfEvbiT1_lT2_llS8_lllS7_lT3_llli,comdat
	.globl	_ZL19rocblas_spmv_kernelILi64ELi16EfPKPKfPKPfEvbiT1_lT2_llS8_lllS7_lT3_llli ; -- Begin function _ZL19rocblas_spmv_kernelILi64ELi16EfPKPKfPKPfEvbiT1_lT2_llS8_lllS7_lT3_llli
	.p2align	8
	.type	_ZL19rocblas_spmv_kernelILi64ELi16EfPKPKfPKPfEvbiT1_lT2_llS8_lllS7_lT3_llli,@function
_ZL19rocblas_spmv_kernelILi64ELi16EfPKPKfPKPfEvbiT1_lT2_llS8_lllS7_lT3_llli: ; @_ZL19rocblas_spmv_kernelILi64ELi16EfPKPKfPKPfEvbiT1_lT2_llS8_lllS7_lT3_llli
; %bb.0:
	s_load_dwordx2 s[0:1], s[4:5], 0x94
	s_mov_b32 s20, s7
	s_waitcnt lgkmcnt(0)
	s_lshr_b32 s2, s0, 16
	s_and_b32 s7, s0, 0xffff
	s_and_b32 s1, s1, 0xffff
	s_mul_i32 s0, s2, s7
	s_mul_i32 s0, s0, s1
	s_cmpk_lg_i32 s0, 0x400
	s_cbranch_scc1 .LBB5_33
; %bb.1:
	s_load_dwordx4 s[8:11], s[4:5], 0x0
	s_waitcnt lgkmcnt(0)
	s_load_dword s11, s[4:5], 0x50
	v_cmp_eq_f32_e64 s[22:23], s10, 0
	s_waitcnt lgkmcnt(0)
	v_cmp_eq_f32_e64 s[0:1], s11, 1.0
	s_and_b64 s[0:1], s[22:23], s[0:1]
	s_and_b64 vcc, exec, s[0:1]
	s_cbranch_vccnz .LBB5_33
; %bb.2:
	v_cmp_neq_f32_e64 s[0:1], s10, 0
	s_mov_b32 s21, 0
	s_and_b64 vcc, exec, s[0:1]
	s_cbranch_vccnz .LBB5_4
; %bb.3:
	s_mov_b64 s[2:3], 0
	s_branch .LBB5_5
.LBB5_4:
	s_mov_b64 s[2:3], -1
.LBB5_5:
	s_load_dwordx2 s[24:25], s[4:5], 0x60
	s_mov_b64 s[18:19], 0
	s_andn2_b64 vcc, exec, s[2:3]
	s_mov_b64 s[16:17], 0
	s_cbranch_vccnz .LBB5_7
; %bb.6:
	s_load_dwordx4 s[12:15], s[4:5], 0x18
	s_lshl_b64 s[2:3], s[20:21], 3
	s_waitcnt lgkmcnt(0)
	s_add_u32 s2, s12, s2
	s_addc_u32 s3, s13, s3
	s_load_dwordx2 s[2:3], s[2:3], 0x0
	s_lshl_b64 s[12:13], s[14:15], 2
	s_waitcnt lgkmcnt(0)
	s_add_u32 s16, s2, s12
	s_addc_u32 s17, s3, s13
.LBB5_7:
	s_load_dwordx4 s[12:15], s[4:5], 0x38
	s_andn2_b64 vcc, exec, s[0:1]
	s_cbranch_vccnz .LBB5_9
; %bb.8:
	s_load_dwordx2 s[0:1], s[4:5], 0x30
	s_lshl_b64 s[2:3], s[20:21], 3
	s_waitcnt lgkmcnt(0)
	s_add_u32 s0, s0, s2
	s_addc_u32 s1, s1, s3
	s_load_dwordx2 s[0:1], s[0:1], 0x0
	s_lshl_b64 s[2:3], s[12:13], 2
	s_waitcnt lgkmcnt(0)
	s_add_u32 s18, s0, s2
	s_addc_u32 s19, s1, s3
.LBB5_9:
	s_load_dwordx4 s[0:3], s[4:5], 0x68
	s_lshl_b64 s[4:5], s[20:21], 3
	s_waitcnt lgkmcnt(0)
	s_add_u32 s4, s24, s4
	s_addc_u32 s5, s25, s5
	s_load_dwordx2 s[4:5], s[4:5], 0x0
	s_lshl_b64 s[0:1], s[0:1], 2
	v_mad_u32_u24 v5, v1, s7, v0
	s_waitcnt lgkmcnt(0)
	s_add_u32 s28, s4, s0
	s_addc_u32 s29, s5, s1
	s_andn2_b64 vcc, exec, s[22:23]
	v_cmp_gt_u32_e64 s[0:1], 64, v5
	s_cbranch_vccnz .LBB5_14
; %bb.10:
	v_lshl_add_u32 v3, s6, 6, v5
	v_cmp_gt_i32_e32 vcc, s9, v3
	s_and_b64 s[20:21], s[0:1], vcc
	s_mov_b64 s[0:1], 0
	s_mov_b64 s[4:5], 0
                                        ; implicit-def: $vgpr2
                                        ; implicit-def: $vgpr0_vgpr1
	s_and_saveexec_b64 s[12:13], s[20:21]
	s_cbranch_execz .LBB5_15
; %bb.11:
	v_ashrrev_i32_e32 v0, 31, v3
	v_mul_lo_u32 v4, s3, v3
	v_mul_lo_u32 v6, s2, v0
	v_mad_u64_u32 v[0:1], s[4:5], s2, v3, 0
	v_cmp_eq_f32_e64 s[4:5], s11, 0
	v_mov_b32_e32 v2, 0
	v_add3_u32 v1, v1, v6, v4
	s_and_b64 vcc, exec, s[4:5]
	s_cbranch_vccnz .LBB5_13
; %bb.12:
	v_lshlrev_b64 v[2:3], 2, v[0:1]
	v_mov_b32_e32 v4, s29
	v_add_co_u32_e32 v2, vcc, s28, v2
	v_addc_co_u32_e32 v3, vcc, v4, v3, vcc
	flat_load_dword v2, v[2:3]
	s_waitcnt vmcnt(0) lgkmcnt(0)
	v_mul_f32_e32 v2, s11, v2
.LBB5_13:
	s_mov_b64 s[4:5], exec
	s_or_b64 exec, exec, s[12:13]
	s_and_b64 vcc, exec, s[0:1]
	s_cbranch_vccnz .LBB5_16
	s_branch .LBB5_31
.LBB5_14:
	s_mov_b64 s[4:5], 0
                                        ; implicit-def: $vgpr2
                                        ; implicit-def: $vgpr0_vgpr1
	s_cbranch_execnz .LBB5_16
	s_branch .LBB5_31
.LBB5_15:
	s_or_b64 exec, exec, s[12:13]
	s_and_b64 vcc, exec, s[0:1]
	s_cbranch_vccz .LBB5_31
.LBB5_16:
	v_lshrrev_b32_e32 v6, 6, v5
	s_lshl_b32 s30, s6, 6
	v_cmp_gt_i32_e32 vcc, s9, v6
	v_mov_b32_e32 v8, 0
	s_and_saveexec_b64 s[6:7], vcc
	s_cbranch_execz .LBB5_26
; %bb.17:
	v_lshrrev_b32_e32 v2, 6, v5
	v_mad_u64_u32 v[0:1], s[0:1], s14, v2, 0
	s_bitcmp1_b32 s8, 0
	s_mov_b32 s23, 0
	v_mad_u64_u32 v[1:2], s[24:25], s15, v2, v[1:2]
	s_mov_b32 s22, s9
	v_and_or_b32 v7, v5, 63, s30
	v_lshlrev_b64 v[0:1], 2, v[0:1]
	s_cselect_b64 s[12:13], -1, 0
	s_lshl_b64 s[22:23], s[22:23], 1
	v_mov_b32_e32 v2, s19
	v_add_co_u32_e32 v0, vcc, s18, v0
	s_lshl_b64 s[14:15], s[14:15], 6
	s_xor_b64 s[20:21], s[12:13], -1
	v_cmp_gt_i32_e64 s[0:1], s9, v7
	s_or_b32 s22, s22, 1
	v_addc_co_u32_e32 v1, vcc, v2, v1, vcc
	v_mov_b32_e32 v8, 0
	s_mov_b64 s[18:19], 0
	v_mov_b32_e32 v9, s15
	s_branch .LBB5_20
.LBB5_18:                               ;   in Loop: Header=BB5_20 Depth=1
	v_mul_lo_u32 v12, v4, v10
	v_mul_lo_u32 v11, v3, v11
	v_mad_u64_u32 v[3:4], s[26:27], v3, v10, 0
	v_add3_u32 v4, v4, v11, v12
	v_lshlrev_b64 v[10:11], 1, v[3:4]
	v_ashrrev_i32_e32 v3, 31, v2
	v_and_b32_e32 v4, -4, v10
	v_mov_b32_e32 v10, s17
	v_add_co_u32_e32 v4, vcc, s16, v4
	v_lshlrev_b64 v[2:3], 2, v[2:3]
	v_addc_co_u32_e32 v10, vcc, v10, v11, vcc
	v_add_co_u32_e32 v2, vcc, v4, v2
	v_addc_co_u32_e32 v3, vcc, v10, v3, vcc
	flat_load_dword v4, v[2:3]
	flat_load_dword v10, v[0:1]
	s_waitcnt vmcnt(0) lgkmcnt(0)
	v_fmac_f32_e32 v8, v4, v10
.LBB5_19:                               ;   in Loop: Header=BB5_20 Depth=1
	s_or_b64 exec, exec, s[24:25]
	v_add_u32_e32 v6, 16, v6
	v_cmp_le_i32_e32 vcc, s9, v6
	s_or_b64 s[18:19], vcc, s[18:19]
	v_add_co_u32_e32 v0, vcc, s14, v0
	v_addc_co_u32_e32 v1, vcc, v1, v9, vcc
	s_andn2_b64 exec, exec, s[18:19]
	s_cbranch_execz .LBB5_25
.LBB5_20:                               ; =>This Inner Loop Header: Depth=1
	s_and_saveexec_b64 s[24:25], s[0:1]
	s_cbranch_execz .LBB5_19
; %bb.21:                               ;   in Loop: Header=BB5_20 Depth=1
	v_cmp_le_i32_e32 vcc, v7, v6
	s_or_b64 s[34:35], s[20:21], vcc
	v_cmp_ge_i32_e32 vcc, v7, v6
	s_or_b64 s[36:37], s[12:13], vcc
	s_and_b64 vcc, s[34:35], s[36:37]
	v_cndmask_b32_e32 v10, v7, v6, vcc
	s_mov_b64 s[26:27], -1
	v_cndmask_b32_e32 v12, v6, v7, vcc
	v_ashrrev_i32_e32 v11, 31, v10
	s_and_b64 vcc, exec, s[20:21]
                                        ; implicit-def: $vgpr3_vgpr4
                                        ; implicit-def: $vgpr2
	s_cbranch_vccz .LBB5_23
; %bb.22:                               ;   in Loop: Header=BB5_20 Depth=1
	v_mov_b32_e32 v2, s23
	v_sub_co_u32_e32 v3, vcc, s22, v10
	v_subb_co_u32_e32 v4, vcc, v2, v11, vcc
	v_sub_u32_e32 v2, v12, v10
	s_mov_b64 s[26:27], 0
.LBB5_23:                               ;   in Loop: Header=BB5_20 Depth=1
	s_andn2_b64 vcc, exec, s[26:27]
	s_cbranch_vccnz .LBB5_18
; %bb.24:                               ;   in Loop: Header=BB5_20 Depth=1
	v_add_co_u32_e32 v3, vcc, 1, v10
	v_addc_co_u32_e32 v4, vcc, 0, v11, vcc
	v_mov_b32_e32 v2, v12
	s_branch .LBB5_18
.LBB5_25:
	s_or_b64 exec, exec, s[18:19]
.LBB5_26:
	s_or_b64 exec, exec, s[6:7]
	v_add_u32_e32 v4, s30, v5
	v_cmp_gt_u32_e32 vcc, 64, v5
	v_cmp_gt_i32_e64 s[0:1], s9, v4
	v_lshlrev_b32_e32 v3, 2, v5
	s_and_b64 s[6:7], vcc, s[0:1]
	ds_write_b32 v3, v8
	s_waitcnt lgkmcnt(0)
	s_barrier
                                        ; implicit-def: $vgpr2
                                        ; implicit-def: $vgpr0_vgpr1
	s_and_saveexec_b64 s[0:1], s[6:7]
	s_cbranch_execz .LBB5_30
; %bb.27:
	ds_read2st64_b32 v[0:1], v3 offset1:1
	ds_read2st64_b32 v[5:6], v3 offset0:2 offset1:3
	ds_read2st64_b32 v[7:8], v3 offset0:4 offset1:5
	;; [unrolled: 1-line block ×4, first 2 shown]
	s_waitcnt lgkmcnt(4)
	v_add_f32_e32 v0, v0, v1
	s_waitcnt lgkmcnt(3)
	v_add_f32_e32 v0, v5, v0
	v_add_f32_e32 v0, v6, v0
	s_waitcnt lgkmcnt(2)
	v_add_f32_e32 v0, v7, v0
	;; [unrolled: 3-line block ×3, first 2 shown]
	v_add_f32_e32 v2, v10, v0
	ds_read2st64_b32 v[0:1], v3 offset0:10 offset1:11
	ds_read2st64_b32 v[5:6], v3 offset0:12 offset1:13
	;; [unrolled: 1-line block ×3, first 2 shown]
	s_waitcnt lgkmcnt(3)
	v_add_f32_e32 v2, v11, v2
	v_add_f32_e32 v2, v12, v2
	s_waitcnt lgkmcnt(2)
	v_add_f32_e32 v0, v0, v2
	v_add_f32_e32 v0, v1, v0
	s_waitcnt lgkmcnt(1)
	v_add_f32_e32 v0, v5, v0
	v_add_f32_e32 v0, v6, v0
	s_waitcnt lgkmcnt(0)
	v_add_f32_e32 v0, v7, v0
	v_add_f32_e32 v2, v8, v0
	v_ashrrev_i32_e32 v0, 31, v4
	v_mul_lo_u32 v5, s3, v4
	v_mul_lo_u32 v6, s2, v0
	v_mad_u64_u32 v[0:1], s[2:3], s2, v4, 0
	v_cmp_eq_f32_e64 s[2:3], s11, 0
	ds_write_b32 v3, v2
	v_mul_f32_e32 v2, s10, v2
	v_add3_u32 v1, v1, v6, v5
	s_and_b64 vcc, exec, s[2:3]
	s_cbranch_vccnz .LBB5_29
; %bb.28:
	v_lshlrev_b64 v[3:4], 2, v[0:1]
	v_mov_b32_e32 v5, s29
	v_add_co_u32_e32 v3, vcc, s28, v3
	v_addc_co_u32_e32 v4, vcc, v5, v4, vcc
	flat_load_dword v3, v[3:4]
	s_waitcnt vmcnt(0) lgkmcnt(0)
	v_fmac_f32_e32 v2, s11, v3
.LBB5_29:
	s_or_b64 s[4:5], s[4:5], exec
.LBB5_30:
	s_or_b64 exec, exec, s[0:1]
.LBB5_31:
	s_and_saveexec_b64 s[0:1], s[4:5]
	s_cbranch_execz .LBB5_33
; %bb.32:
	v_lshlrev_b64 v[0:1], 2, v[0:1]
	v_mov_b32_e32 v3, s29
	v_add_co_u32_e32 v0, vcc, s28, v0
	v_addc_co_u32_e32 v1, vcc, v3, v1, vcc
	flat_store_dword v[0:1], v2
.LBB5_33:
	s_endpgm
	.section	.rodata,"a",@progbits
	.p2align	6, 0x0
	.amdhsa_kernel _ZL19rocblas_spmv_kernelILi64ELi16EfPKPKfPKPfEvbiT1_lT2_llS8_lllS7_lT3_llli
		.amdhsa_group_segment_fixed_size 4096
		.amdhsa_private_segment_fixed_size 0
		.amdhsa_kernarg_size 392
		.amdhsa_user_sgpr_count 6
		.amdhsa_user_sgpr_private_segment_buffer 1
		.amdhsa_user_sgpr_dispatch_ptr 0
		.amdhsa_user_sgpr_queue_ptr 0
		.amdhsa_user_sgpr_kernarg_segment_ptr 1
		.amdhsa_user_sgpr_dispatch_id 0
		.amdhsa_user_sgpr_flat_scratch_init 0
		.amdhsa_user_sgpr_private_segment_size 0
		.amdhsa_uses_dynamic_stack 0
		.amdhsa_system_sgpr_private_segment_wavefront_offset 0
		.amdhsa_system_sgpr_workgroup_id_x 1
		.amdhsa_system_sgpr_workgroup_id_y 0
		.amdhsa_system_sgpr_workgroup_id_z 1
		.amdhsa_system_sgpr_workgroup_info 0
		.amdhsa_system_vgpr_workitem_id 1
		.amdhsa_next_free_vgpr 29
		.amdhsa_next_free_sgpr 61
		.amdhsa_reserve_vcc 1
		.amdhsa_reserve_flat_scratch 0
		.amdhsa_float_round_mode_32 0
		.amdhsa_float_round_mode_16_64 0
		.amdhsa_float_denorm_mode_32 3
		.amdhsa_float_denorm_mode_16_64 3
		.amdhsa_dx10_clamp 1
		.amdhsa_ieee_mode 1
		.amdhsa_fp16_overflow 0
		.amdhsa_exception_fp_ieee_invalid_op 0
		.amdhsa_exception_fp_denorm_src 0
		.amdhsa_exception_fp_ieee_div_zero 0
		.amdhsa_exception_fp_ieee_overflow 0
		.amdhsa_exception_fp_ieee_underflow 0
		.amdhsa_exception_fp_ieee_inexact 0
		.amdhsa_exception_int_div_zero 0
	.end_amdhsa_kernel
	.section	.text._ZL19rocblas_spmv_kernelILi64ELi16EfPKPKfPKPfEvbiT1_lT2_llS8_lllS7_lT3_llli,"axG",@progbits,_ZL19rocblas_spmv_kernelILi64ELi16EfPKPKfPKPfEvbiT1_lT2_llS8_lllS7_lT3_llli,comdat
.Lfunc_end5:
	.size	_ZL19rocblas_spmv_kernelILi64ELi16EfPKPKfPKPfEvbiT1_lT2_llS8_lllS7_lT3_llli, .Lfunc_end5-_ZL19rocblas_spmv_kernelILi64ELi16EfPKPKfPKPfEvbiT1_lT2_llS8_lllS7_lT3_llli
                                        ; -- End function
	.set _ZL19rocblas_spmv_kernelILi64ELi16EfPKPKfPKPfEvbiT1_lT2_llS8_lllS7_lT3_llli.num_vgpr, 13
	.set _ZL19rocblas_spmv_kernelILi64ELi16EfPKPKfPKPfEvbiT1_lT2_llS8_lllS7_lT3_llli.num_agpr, 0
	.set _ZL19rocblas_spmv_kernelILi64ELi16EfPKPKfPKPfEvbiT1_lT2_llS8_lllS7_lT3_llli.numbered_sgpr, 38
	.set _ZL19rocblas_spmv_kernelILi64ELi16EfPKPKfPKPfEvbiT1_lT2_llS8_lllS7_lT3_llli.num_named_barrier, 0
	.set _ZL19rocblas_spmv_kernelILi64ELi16EfPKPKfPKPfEvbiT1_lT2_llS8_lllS7_lT3_llli.private_seg_size, 0
	.set _ZL19rocblas_spmv_kernelILi64ELi16EfPKPKfPKPfEvbiT1_lT2_llS8_lllS7_lT3_llli.uses_vcc, 1
	.set _ZL19rocblas_spmv_kernelILi64ELi16EfPKPKfPKPfEvbiT1_lT2_llS8_lllS7_lT3_llli.uses_flat_scratch, 0
	.set _ZL19rocblas_spmv_kernelILi64ELi16EfPKPKfPKPfEvbiT1_lT2_llS8_lllS7_lT3_llli.has_dyn_sized_stack, 0
	.set _ZL19rocblas_spmv_kernelILi64ELi16EfPKPKfPKPfEvbiT1_lT2_llS8_lllS7_lT3_llli.has_recursion, 0
	.set _ZL19rocblas_spmv_kernelILi64ELi16EfPKPKfPKPfEvbiT1_lT2_llS8_lllS7_lT3_llli.has_indirect_call, 0
	.section	.AMDGPU.csdata,"",@progbits
; Kernel info:
; codeLenInByte = 1228
; TotalNumSgprs: 42
; NumVgprs: 13
; ScratchSize: 0
; MemoryBound: 0
; FloatMode: 240
; IeeeMode: 1
; LDSByteSize: 4096 bytes/workgroup (compile time only)
; SGPRBlocks: 8
; VGPRBlocks: 7
; NumSGPRsForWavesPerEU: 65
; NumVGPRsForWavesPerEU: 29
; Occupancy: 8
; WaveLimiterHint : 1
; COMPUTE_PGM_RSRC2:SCRATCH_EN: 0
; COMPUTE_PGM_RSRC2:USER_SGPR: 6
; COMPUTE_PGM_RSRC2:TRAP_HANDLER: 0
; COMPUTE_PGM_RSRC2:TGID_X_EN: 1
; COMPUTE_PGM_RSRC2:TGID_Y_EN: 0
; COMPUTE_PGM_RSRC2:TGID_Z_EN: 1
; COMPUTE_PGM_RSRC2:TIDIG_COMP_CNT: 1
	.section	.text._ZL19rocblas_spmv_kernelILi64ELi16EPKdPKS1_PKPdEvbiT1_lT2_llS8_lllS7_lT3_llli,"axG",@progbits,_ZL19rocblas_spmv_kernelILi64ELi16EPKdPKS1_PKPdEvbiT1_lT2_llS8_lllS7_lT3_llli,comdat
	.globl	_ZL19rocblas_spmv_kernelILi64ELi16EPKdPKS1_PKPdEvbiT1_lT2_llS8_lllS7_lT3_llli ; -- Begin function _ZL19rocblas_spmv_kernelILi64ELi16EPKdPKS1_PKPdEvbiT1_lT2_llS8_lllS7_lT3_llli
	.p2align	8
	.type	_ZL19rocblas_spmv_kernelILi64ELi16EPKdPKS1_PKPdEvbiT1_lT2_llS8_lllS7_lT3_llli,@function
_ZL19rocblas_spmv_kernelILi64ELi16EPKdPKS1_PKPdEvbiT1_lT2_llS8_lllS7_lT3_llli: ; @_ZL19rocblas_spmv_kernelILi64ELi16EPKdPKS1_PKPdEvbiT1_lT2_llS8_lllS7_lT3_llli
; %bb.0:
	s_load_dwordx2 s[0:1], s[4:5], 0x94
	s_mov_b32 s20, s7
	s_waitcnt lgkmcnt(0)
	s_lshr_b32 s2, s0, 16
	s_and_b32 s7, s0, 0xffff
	s_and_b32 s1, s1, 0xffff
	s_mul_i32 s0, s2, s7
	s_mul_i32 s0, s0, s1
	s_cmpk_lg_i32 s0, 0x400
	s_cbranch_scc1 .LBB6_30
; %bb.1:
	s_load_dwordx4 s[0:3], s[4:5], 0x8
	s_load_dwordx4 s[8:11], s[4:5], 0x50
	s_waitcnt lgkmcnt(0)
	s_mul_i32 s3, s3, s20
	s_mul_hi_u32 s12, s2, s20
	s_mul_i32 s2, s2, s20
	s_add_i32 s3, s12, s3
	s_lshl_b64 s[2:3], s[2:3], 3
	s_add_u32 s0, s0, s2
	s_addc_u32 s1, s1, s3
	s_mul_i32 s11, s11, s20
	s_load_dwordx2 s[14:15], s[0:1], 0x0
	s_mul_hi_u32 s0, s10, s20
	s_add_i32 s1, s0, s11
	s_mul_i32 s0, s10, s20
	s_lshl_b64 s[0:1], s[0:1], 3
	s_add_u32 s0, s8, s0
	s_addc_u32 s1, s9, s1
	s_load_dwordx2 s[12:13], s[0:1], 0x0
	s_waitcnt lgkmcnt(0)
	v_cmp_eq_f64_e64 s[22:23], s[14:15], 0
	v_cmp_eq_f64_e64 s[0:1], s[12:13], 1.0
	s_and_b64 s[0:1], s[22:23], s[0:1]
	s_and_b64 vcc, exec, s[0:1]
	s_cbranch_vccnz .LBB6_30
; %bb.2:
	v_cmp_neq_f64_e64 s[0:1], s[14:15], 0
	s_load_dwordx2 s[24:25], s[4:5], 0x60
	s_mov_b32 s21, 0
	s_mov_b64 s[18:19], 0
	s_and_b64 vcc, exec, s[22:23]
	s_mov_b64 s[16:17], 0
	s_cbranch_vccnz .LBB6_4
; %bb.3:
	s_load_dwordx4 s[8:11], s[4:5], 0x18
	s_lshl_b64 s[2:3], s[20:21], 3
	s_waitcnt lgkmcnt(0)
	s_add_u32 s2, s8, s2
	s_addc_u32 s3, s9, s3
	s_load_dwordx2 s[2:3], s[2:3], 0x0
	s_lshl_b64 s[8:9], s[10:11], 3
	s_waitcnt lgkmcnt(0)
	s_add_u32 s16, s2, s8
	s_addc_u32 s17, s3, s9
.LBB6_4:
	s_load_dwordx4 s[8:11], s[4:5], 0x38
	s_andn2_b64 vcc, exec, s[0:1]
	s_cbranch_vccnz .LBB6_6
; %bb.5:
	s_load_dwordx2 s[0:1], s[4:5], 0x30
	s_lshl_b64 s[2:3], s[20:21], 3
	s_waitcnt lgkmcnt(0)
	s_add_u32 s0, s0, s2
	s_addc_u32 s1, s1, s3
	s_load_dwordx2 s[0:1], s[0:1], 0x0
	s_lshl_b64 s[2:3], s[8:9], 3
	s_waitcnt lgkmcnt(0)
	s_add_u32 s18, s0, s2
	s_addc_u32 s19, s1, s3
.LBB6_6:
	s_waitcnt lgkmcnt(0)
	s_lshl_b64 s[8:9], s[20:21], 3
	s_load_dwordx4 s[0:3], s[4:5], 0x68
	s_add_u32 s20, s24, s8
	s_addc_u32 s21, s25, s9
	s_load_dwordx2 s[24:25], s[20:21], 0x0
	s_load_dwordx2 s[8:9], s[4:5], 0x0
	v_mad_u32_u24 v7, v1, s7, v0
	s_waitcnt lgkmcnt(0)
	s_lshl_b64 s[0:1], s[0:1], 3
	s_add_u32 s30, s24, s0
	s_addc_u32 s31, s25, s1
	s_andn2_b64 vcc, exec, s[22:23]
	v_cmp_gt_u32_e64 s[0:1], 64, v7
	s_cbranch_vccnz .LBB6_11
; %bb.7:
	v_lshl_add_u32 v4, s6, 6, v7
	v_cmp_gt_i32_e32 vcc, s9, v4
	s_and_b64 s[22:23], s[0:1], vcc
	s_mov_b64 s[0:1], 0
	s_mov_b64 s[4:5], 0
                                        ; implicit-def: $vgpr0_vgpr1
                                        ; implicit-def: $vgpr2_vgpr3
	s_and_saveexec_b64 s[20:21], s[22:23]
	s_cbranch_execz .LBB6_12
; %bb.8:
	v_cmp_eq_f64_e64 s[4:5], s[12:13], 0
	v_ashrrev_i32_e32 v0, 31, v4
	v_mul_lo_u32 v5, s3, v4
	v_mul_lo_u32 v6, s2, v0
	v_mad_u64_u32 v[2:3], s[22:23], s2, v4, 0
	v_mov_b32_e32 v0, 0
	v_mov_b32_e32 v1, 0
	v_add3_u32 v3, v3, v6, v5
	s_and_b64 vcc, exec, s[4:5]
	s_cbranch_vccnz .LBB6_10
; %bb.9:
	v_lshlrev_b64 v[0:1], 3, v[2:3]
	v_mov_b32_e32 v4, s31
	v_add_co_u32_e32 v0, vcc, s30, v0
	v_addc_co_u32_e32 v1, vcc, v4, v1, vcc
	flat_load_dwordx2 v[0:1], v[0:1]
	s_waitcnt vmcnt(0) lgkmcnt(0)
	v_mul_f64 v[0:1], s[12:13], v[0:1]
.LBB6_10:
	s_mov_b64 s[4:5], exec
	s_or_b64 exec, exec, s[20:21]
	s_and_b64 vcc, exec, s[0:1]
	s_cbranch_vccnz .LBB6_13
	s_branch .LBB6_28
.LBB6_11:
	s_mov_b64 s[4:5], 0
                                        ; implicit-def: $vgpr0_vgpr1
                                        ; implicit-def: $vgpr2_vgpr3
	s_cbranch_execnz .LBB6_13
	s_branch .LBB6_28
.LBB6_12:
	s_or_b64 exec, exec, s[20:21]
	s_and_b64 vcc, exec, s[0:1]
	s_cbranch_vccz .LBB6_28
.LBB6_13:
	v_lshrrev_b32_e32 v8, 6, v7
	v_mov_b32_e32 v0, 0
	s_lshl_b32 s33, s6, 6
	v_mov_b32_e32 v1, 0
	v_cmp_gt_i32_e32 vcc, s9, v8
	s_and_saveexec_b64 s[6:7], vcc
	s_cbranch_execz .LBB6_23
; %bb.14:
	v_lshrrev_b32_e32 v2, 6, v7
	v_mad_u64_u32 v[0:1], s[0:1], s10, v2, 0
	s_bitcmp1_b32 s8, 0
	s_mov_b32 s25, 0
	v_mad_u64_u32 v[1:2], s[26:27], s11, v2, v[1:2]
	s_mov_b32 s24, s9
	v_mov_b32_e32 v3, s19
	v_lshlrev_b64 v[0:1], 3, v[0:1]
	v_and_or_b32 v9, v7, 63, s33
	v_add_co_u32_e32 v2, vcc, s18, v0
	s_cselect_b64 s[20:21], -1, 0
	s_lshl_b64 s[24:25], s[24:25], 1
	v_addc_co_u32_e32 v3, vcc, v3, v1, vcc
	s_lshl_b64 s[10:11], s[10:11], 7
	v_mov_b32_e32 v0, 0
	s_xor_b64 s[22:23], s[20:21], -1
	v_cmp_gt_i32_e64 s[0:1], s9, v9
	s_or_b32 s24, s24, 1
	v_mov_b32_e32 v1, 0
	s_mov_b64 s[18:19], 0
	v_mov_b32_e32 v10, s11
	s_branch .LBB6_17
.LBB6_15:                               ;   in Loop: Header=BB6_17 Depth=1
	v_mul_lo_u32 v13, v6, v11
	v_mul_lo_u32 v12, v5, v12
	v_mad_u64_u32 v[5:6], s[28:29], v5, v11, 0
	v_add3_u32 v6, v6, v12, v13
	v_lshlrev_b64 v[11:12], 2, v[5:6]
	v_ashrrev_i32_e32 v5, 31, v4
	v_and_b32_e32 v6, -8, v11
	v_mov_b32_e32 v11, s17
	v_add_co_u32_e32 v6, vcc, s16, v6
	v_lshlrev_b64 v[4:5], 3, v[4:5]
	v_addc_co_u32_e32 v11, vcc, v11, v12, vcc
	v_add_co_u32_e32 v4, vcc, v6, v4
	v_addc_co_u32_e32 v5, vcc, v11, v5, vcc
	flat_load_dwordx2 v[11:12], v[4:5]
	flat_load_dwordx2 v[13:14], v[2:3]
	s_waitcnt vmcnt(0) lgkmcnt(0)
	v_fma_f64 v[0:1], v[11:12], v[13:14], v[0:1]
.LBB6_16:                               ;   in Loop: Header=BB6_17 Depth=1
	s_or_b64 exec, exec, s[26:27]
	v_add_u32_e32 v8, 16, v8
	v_cmp_le_i32_e32 vcc, s9, v8
	s_or_b64 s[18:19], vcc, s[18:19]
	v_add_co_u32_e32 v2, vcc, s10, v2
	v_addc_co_u32_e32 v3, vcc, v3, v10, vcc
	s_andn2_b64 exec, exec, s[18:19]
	s_cbranch_execz .LBB6_22
.LBB6_17:                               ; =>This Inner Loop Header: Depth=1
	s_and_saveexec_b64 s[26:27], s[0:1]
	s_cbranch_execz .LBB6_16
; %bb.18:                               ;   in Loop: Header=BB6_17 Depth=1
	v_cmp_le_i32_e32 vcc, v9, v8
	s_or_b64 s[34:35], s[22:23], vcc
	v_cmp_ge_i32_e32 vcc, v9, v8
	s_or_b64 s[36:37], s[20:21], vcc
	s_and_b64 vcc, s[34:35], s[36:37]
	v_cndmask_b32_e32 v11, v9, v8, vcc
	s_mov_b64 s[28:29], -1
	v_cndmask_b32_e32 v13, v8, v9, vcc
	v_ashrrev_i32_e32 v12, 31, v11
	s_and_b64 vcc, exec, s[22:23]
                                        ; implicit-def: $vgpr5_vgpr6
                                        ; implicit-def: $vgpr4
	s_cbranch_vccz .LBB6_20
; %bb.19:                               ;   in Loop: Header=BB6_17 Depth=1
	v_mov_b32_e32 v4, s25
	v_sub_co_u32_e32 v5, vcc, s24, v11
	v_subb_co_u32_e32 v6, vcc, v4, v12, vcc
	v_sub_u32_e32 v4, v13, v11
	s_mov_b64 s[28:29], 0
.LBB6_20:                               ;   in Loop: Header=BB6_17 Depth=1
	s_andn2_b64 vcc, exec, s[28:29]
	s_cbranch_vccnz .LBB6_15
; %bb.21:                               ;   in Loop: Header=BB6_17 Depth=1
	v_add_co_u32_e32 v5, vcc, 1, v11
	v_addc_co_u32_e32 v6, vcc, 0, v12, vcc
	v_mov_b32_e32 v4, v13
	s_branch .LBB6_15
.LBB6_22:
	s_or_b64 exec, exec, s[18:19]
.LBB6_23:
	s_or_b64 exec, exec, s[6:7]
	v_add_u32_e32 v5, s33, v7
	v_cmp_gt_u32_e32 vcc, 64, v7
	v_cmp_gt_i32_e64 s[0:1], s9, v5
	v_lshlrev_b32_e32 v4, 3, v7
	s_and_b64 s[6:7], vcc, s[0:1]
	ds_write_b64 v4, v[0:1]
	s_waitcnt lgkmcnt(0)
	s_barrier
                                        ; implicit-def: $vgpr0_vgpr1
                                        ; implicit-def: $vgpr2_vgpr3
	s_and_saveexec_b64 s[0:1], s[6:7]
	s_cbranch_execz .LBB6_27
; %bb.24:
	ds_read2st64_b64 v[0:3], v4 offset1:1
	ds_read2st64_b64 v[6:9], v4 offset0:2 offset1:3
	v_cmp_eq_f64_e64 s[6:7], s[12:13], 0
	s_waitcnt lgkmcnt(1)
	v_add_f64 v[0:1], v[0:1], v[2:3]
	s_and_b64 vcc, exec, s[6:7]
	s_waitcnt lgkmcnt(0)
	v_add_f64 v[0:1], v[6:7], v[0:1]
	v_add_f64 v[10:11], v[8:9], v[0:1]
	ds_read2st64_b64 v[0:3], v4 offset0:4 offset1:5
	ds_read2st64_b64 v[6:9], v4 offset0:6 offset1:7
	s_waitcnt lgkmcnt(1)
	v_add_f64 v[0:1], v[0:1], v[10:11]
	v_add_f64 v[0:1], v[2:3], v[0:1]
	s_waitcnt lgkmcnt(0)
	v_add_f64 v[0:1], v[6:7], v[0:1]
	v_add_f64 v[10:11], v[8:9], v[0:1]
	ds_read2st64_b64 v[0:3], v4 offset0:8 offset1:9
	ds_read2st64_b64 v[6:9], v4 offset0:10 offset1:11
	s_waitcnt lgkmcnt(1)
	v_add_f64 v[0:1], v[0:1], v[10:11]
	v_add_f64 v[0:1], v[2:3], v[0:1]
	;; [unrolled: 8-line block ×3, first 2 shown]
	s_waitcnt lgkmcnt(0)
	v_add_f64 v[0:1], v[6:7], v[0:1]
	v_add_f64 v[6:7], v[8:9], v[0:1]
	v_ashrrev_i32_e32 v0, 31, v5
	v_mul_lo_u32 v9, s2, v0
	v_mul_lo_u32 v8, s3, v5
	v_mad_u64_u32 v[2:3], s[2:3], s2, v5, 0
	v_add3_u32 v3, v3, v9, v8
	v_mul_f64 v[0:1], s[14:15], v[6:7]
	ds_write_b64 v4, v[6:7]
	s_cbranch_vccnz .LBB6_26
; %bb.25:
	v_lshlrev_b64 v[4:5], 3, v[2:3]
	v_mov_b32_e32 v6, s31
	v_add_co_u32_e32 v4, vcc, s30, v4
	v_addc_co_u32_e32 v5, vcc, v6, v5, vcc
	flat_load_dwordx2 v[4:5], v[4:5]
	s_waitcnt vmcnt(0) lgkmcnt(0)
	v_fma_f64 v[0:1], s[12:13], v[4:5], v[0:1]
.LBB6_26:
	s_or_b64 s[4:5], s[4:5], exec
.LBB6_27:
	s_or_b64 exec, exec, s[0:1]
.LBB6_28:
	s_and_saveexec_b64 s[0:1], s[4:5]
	s_cbranch_execz .LBB6_30
; %bb.29:
	v_lshlrev_b64 v[2:3], 3, v[2:3]
	v_mov_b32_e32 v4, s31
	v_add_co_u32_e32 v2, vcc, s30, v2
	v_addc_co_u32_e32 v3, vcc, v4, v3, vcc
	flat_store_dwordx2 v[2:3], v[0:1]
.LBB6_30:
	s_endpgm
	.section	.rodata,"a",@progbits
	.p2align	6, 0x0
	.amdhsa_kernel _ZL19rocblas_spmv_kernelILi64ELi16EPKdPKS1_PKPdEvbiT1_lT2_llS8_lllS7_lT3_llli
		.amdhsa_group_segment_fixed_size 8192
		.amdhsa_private_segment_fixed_size 0
		.amdhsa_kernarg_size 392
		.amdhsa_user_sgpr_count 6
		.amdhsa_user_sgpr_private_segment_buffer 1
		.amdhsa_user_sgpr_dispatch_ptr 0
		.amdhsa_user_sgpr_queue_ptr 0
		.amdhsa_user_sgpr_kernarg_segment_ptr 1
		.amdhsa_user_sgpr_dispatch_id 0
		.amdhsa_user_sgpr_flat_scratch_init 0
		.amdhsa_user_sgpr_private_segment_size 0
		.amdhsa_uses_dynamic_stack 0
		.amdhsa_system_sgpr_private_segment_wavefront_offset 0
		.amdhsa_system_sgpr_workgroup_id_x 1
		.amdhsa_system_sgpr_workgroup_id_y 0
		.amdhsa_system_sgpr_workgroup_id_z 1
		.amdhsa_system_sgpr_workgroup_info 0
		.amdhsa_system_vgpr_workitem_id 1
		.amdhsa_next_free_vgpr 29
		.amdhsa_next_free_sgpr 61
		.amdhsa_reserve_vcc 1
		.amdhsa_reserve_flat_scratch 0
		.amdhsa_float_round_mode_32 0
		.amdhsa_float_round_mode_16_64 0
		.amdhsa_float_denorm_mode_32 3
		.amdhsa_float_denorm_mode_16_64 3
		.amdhsa_dx10_clamp 1
		.amdhsa_ieee_mode 1
		.amdhsa_fp16_overflow 0
		.amdhsa_exception_fp_ieee_invalid_op 0
		.amdhsa_exception_fp_denorm_src 0
		.amdhsa_exception_fp_ieee_div_zero 0
		.amdhsa_exception_fp_ieee_overflow 0
		.amdhsa_exception_fp_ieee_underflow 0
		.amdhsa_exception_fp_ieee_inexact 0
		.amdhsa_exception_int_div_zero 0
	.end_amdhsa_kernel
	.section	.text._ZL19rocblas_spmv_kernelILi64ELi16EPKdPKS1_PKPdEvbiT1_lT2_llS8_lllS7_lT3_llli,"axG",@progbits,_ZL19rocblas_spmv_kernelILi64ELi16EPKdPKS1_PKPdEvbiT1_lT2_llS8_lllS7_lT3_llli,comdat
.Lfunc_end6:
	.size	_ZL19rocblas_spmv_kernelILi64ELi16EPKdPKS1_PKPdEvbiT1_lT2_llS8_lllS7_lT3_llli, .Lfunc_end6-_ZL19rocblas_spmv_kernelILi64ELi16EPKdPKS1_PKPdEvbiT1_lT2_llS8_lllS7_lT3_llli
                                        ; -- End function
	.set _ZL19rocblas_spmv_kernelILi64ELi16EPKdPKS1_PKPdEvbiT1_lT2_llS8_lllS7_lT3_llli.num_vgpr, 15
	.set _ZL19rocblas_spmv_kernelILi64ELi16EPKdPKS1_PKPdEvbiT1_lT2_llS8_lllS7_lT3_llli.num_agpr, 0
	.set _ZL19rocblas_spmv_kernelILi64ELi16EPKdPKS1_PKPdEvbiT1_lT2_llS8_lllS7_lT3_llli.numbered_sgpr, 38
	.set _ZL19rocblas_spmv_kernelILi64ELi16EPKdPKS1_PKPdEvbiT1_lT2_llS8_lllS7_lT3_llli.num_named_barrier, 0
	.set _ZL19rocblas_spmv_kernelILi64ELi16EPKdPKS1_PKPdEvbiT1_lT2_llS8_lllS7_lT3_llli.private_seg_size, 0
	.set _ZL19rocblas_spmv_kernelILi64ELi16EPKdPKS1_PKPdEvbiT1_lT2_llS8_lllS7_lT3_llli.uses_vcc, 1
	.set _ZL19rocblas_spmv_kernelILi64ELi16EPKdPKS1_PKPdEvbiT1_lT2_llS8_lllS7_lT3_llli.uses_flat_scratch, 0
	.set _ZL19rocblas_spmv_kernelILi64ELi16EPKdPKS1_PKPdEvbiT1_lT2_llS8_lllS7_lT3_llli.has_dyn_sized_stack, 0
	.set _ZL19rocblas_spmv_kernelILi64ELi16EPKdPKS1_PKPdEvbiT1_lT2_llS8_lllS7_lT3_llli.has_recursion, 0
	.set _ZL19rocblas_spmv_kernelILi64ELi16EPKdPKS1_PKPdEvbiT1_lT2_llS8_lllS7_lT3_llli.has_indirect_call, 0
	.section	.AMDGPU.csdata,"",@progbits
; Kernel info:
; codeLenInByte = 1376
; TotalNumSgprs: 42
; NumVgprs: 15
; ScratchSize: 0
; MemoryBound: 0
; FloatMode: 240
; IeeeMode: 1
; LDSByteSize: 8192 bytes/workgroup (compile time only)
; SGPRBlocks: 8
; VGPRBlocks: 7
; NumSGPRsForWavesPerEU: 65
; NumVGPRsForWavesPerEU: 29
; Occupancy: 8
; WaveLimiterHint : 1
; COMPUTE_PGM_RSRC2:SCRATCH_EN: 0
; COMPUTE_PGM_RSRC2:USER_SGPR: 6
; COMPUTE_PGM_RSRC2:TRAP_HANDLER: 0
; COMPUTE_PGM_RSRC2:TGID_X_EN: 1
; COMPUTE_PGM_RSRC2:TGID_Y_EN: 0
; COMPUTE_PGM_RSRC2:TGID_Z_EN: 1
; COMPUTE_PGM_RSRC2:TIDIG_COMP_CNT: 1
	.section	.text._ZL19rocblas_spmv_kernelILi64ELi16EdPKPKdPKPdEvbiT1_lT2_llS8_lllS7_lT3_llli,"axG",@progbits,_ZL19rocblas_spmv_kernelILi64ELi16EdPKPKdPKPdEvbiT1_lT2_llS8_lllS7_lT3_llli,comdat
	.globl	_ZL19rocblas_spmv_kernelILi64ELi16EdPKPKdPKPdEvbiT1_lT2_llS8_lllS7_lT3_llli ; -- Begin function _ZL19rocblas_spmv_kernelILi64ELi16EdPKPKdPKPdEvbiT1_lT2_llS8_lllS7_lT3_llli
	.p2align	8
	.type	_ZL19rocblas_spmv_kernelILi64ELi16EdPKPKdPKPdEvbiT1_lT2_llS8_lllS7_lT3_llli,@function
_ZL19rocblas_spmv_kernelILi64ELi16EdPKPKdPKPdEvbiT1_lT2_llS8_lllS7_lT3_llli: ; @_ZL19rocblas_spmv_kernelILi64ELi16EdPKPKdPKPdEvbiT1_lT2_llS8_lllS7_lT3_llli
; %bb.0:
	s_load_dwordx2 s[0:1], s[4:5], 0x94
	s_mov_b32 s24, s7
	s_waitcnt lgkmcnt(0)
	s_lshr_b32 s2, s0, 16
	s_and_b32 s7, s0, 0xffff
	s_and_b32 s1, s1, 0xffff
	s_mul_i32 s0, s2, s7
	s_mul_i32 s0, s0, s1
	s_cmpk_lg_i32 s0, 0x400
	s_cbranch_scc1 .LBB7_32
; %bb.1:
	s_load_dwordx2 s[14:15], s[4:5], 0x8
	s_load_dwordx2 s[12:13], s[4:5], 0x50
	s_waitcnt lgkmcnt(0)
	v_cmp_eq_f64_e64 s[22:23], s[14:15], 0
	v_cmp_eq_f64_e64 s[0:1], s[12:13], 1.0
	s_and_b64 s[0:1], s[22:23], s[0:1]
	s_and_b64 vcc, exec, s[0:1]
	s_cbranch_vccnz .LBB7_32
; %bb.2:
	v_cmp_neq_f64_e64 s[0:1], s[14:15], 0
	s_mov_b64 s[18:19], 0
	s_mov_b32 s25, 0
	s_and_b64 vcc, exec, s[0:1]
	s_cbranch_vccnz .LBB7_4
; %bb.3:
	s_load_dwordx2 s[26:27], s[4:5], 0x60
	s_cbranch_execz .LBB7_5
	s_branch .LBB7_6
.LBB7_4:
	s_load_dwordx2 s[26:27], s[4:5], 0x60
.LBB7_5:
	s_load_dwordx4 s[8:11], s[4:5], 0x18
	s_lshl_b64 s[2:3], s[24:25], 3
	s_waitcnt lgkmcnt(0)
	s_add_u32 s2, s8, s2
	s_addc_u32 s3, s9, s3
	s_load_dwordx2 s[2:3], s[2:3], 0x0
	s_lshl_b64 s[8:9], s[10:11], 3
	s_waitcnt lgkmcnt(0)
	s_add_u32 s18, s2, s8
	s_addc_u32 s19, s3, s9
.LBB7_6:
	s_load_dwordx4 s[8:11], s[4:5], 0x38
	s_mov_b64 s[16:17], 0
	s_andn2_b64 vcc, exec, s[0:1]
	s_mov_b64 s[20:21], 0
	s_cbranch_vccnz .LBB7_8
; %bb.7:
	s_load_dwordx2 s[0:1], s[4:5], 0x30
	s_lshl_b64 s[2:3], s[24:25], 3
	s_waitcnt lgkmcnt(0)
	s_add_u32 s0, s0, s2
	s_addc_u32 s1, s1, s3
	s_load_dwordx2 s[0:1], s[0:1], 0x0
	s_lshl_b64 s[2:3], s[8:9], 3
	s_waitcnt lgkmcnt(0)
	s_add_u32 s20, s0, s2
	s_addc_u32 s21, s1, s3
.LBB7_8:
	s_waitcnt lgkmcnt(0)
	s_lshl_b64 s[8:9], s[24:25], 3
	s_load_dwordx4 s[0:3], s[4:5], 0x68
	s_add_u32 s24, s26, s8
	s_addc_u32 s25, s27, s9
	s_load_dwordx2 s[26:27], s[24:25], 0x0
	s_load_dwordx2 s[8:9], s[4:5], 0x0
	v_mad_u32_u24 v7, v1, s7, v0
	s_waitcnt lgkmcnt(0)
	s_lshl_b64 s[0:1], s[0:1], 3
	s_add_u32 s30, s26, s0
	s_addc_u32 s31, s27, s1
	s_andn2_b64 vcc, exec, s[22:23]
	v_cmp_gt_u32_e64 s[0:1], 64, v7
	s_cbranch_vccnz .LBB7_13
; %bb.9:
	v_lshl_add_u32 v4, s6, 6, v7
	v_cmp_gt_i32_e32 vcc, s9, v4
	s_and_b64 s[22:23], s[0:1], vcc
	s_mov_b64 s[0:1], 0
                                        ; implicit-def: $vgpr0_vgpr1
                                        ; implicit-def: $vgpr2_vgpr3
	s_and_saveexec_b64 s[4:5], s[22:23]
	s_cbranch_execz .LBB7_14
; %bb.10:
	v_cmp_eq_f64_e64 s[16:17], s[12:13], 0
	v_ashrrev_i32_e32 v0, 31, v4
	v_mul_lo_u32 v5, s3, v4
	v_mul_lo_u32 v6, s2, v0
	v_mad_u64_u32 v[2:3], s[22:23], s2, v4, 0
	v_mov_b32_e32 v0, 0
	v_mov_b32_e32 v1, 0
	v_add3_u32 v3, v3, v6, v5
	s_and_b64 vcc, exec, s[16:17]
	s_cbranch_vccnz .LBB7_12
; %bb.11:
	v_lshlrev_b64 v[0:1], 3, v[2:3]
	v_mov_b32_e32 v4, s31
	v_add_co_u32_e32 v0, vcc, s30, v0
	v_addc_co_u32_e32 v1, vcc, v4, v1, vcc
	flat_load_dwordx2 v[0:1], v[0:1]
	s_waitcnt vmcnt(0) lgkmcnt(0)
	v_mul_f64 v[0:1], s[12:13], v[0:1]
.LBB7_12:
	s_mov_b64 s[16:17], exec
	s_or_b64 exec, exec, s[4:5]
	s_and_b64 vcc, exec, s[0:1]
	s_cbranch_vccnz .LBB7_15
	s_branch .LBB7_30
.LBB7_13:
                                        ; implicit-def: $vgpr0_vgpr1
                                        ; implicit-def: $vgpr2_vgpr3
	s_cbranch_execnz .LBB7_15
	s_branch .LBB7_30
.LBB7_14:
	s_or_b64 exec, exec, s[4:5]
	s_and_b64 vcc, exec, s[0:1]
	s_cbranch_vccz .LBB7_30
.LBB7_15:
	v_lshrrev_b32_e32 v8, 6, v7
	v_mov_b32_e32 v0, 0
	s_lshl_b32 s33, s6, 6
	v_mov_b32_e32 v1, 0
	v_cmp_gt_i32_e32 vcc, s9, v8
	s_and_saveexec_b64 s[4:5], vcc
	s_cbranch_execz .LBB7_25
; %bb.16:
	v_lshrrev_b32_e32 v2, 6, v7
	v_mad_u64_u32 v[0:1], s[0:1], s10, v2, 0
	s_bitcmp1_b32 s8, 0
	s_mov_b32 s25, 0
	v_mad_u64_u32 v[1:2], s[26:27], s11, v2, v[1:2]
	s_mov_b32 s24, s9
	v_mov_b32_e32 v3, s21
	v_lshlrev_b64 v[0:1], 3, v[0:1]
	v_and_or_b32 v9, v7, 63, s33
	v_add_co_u32_e32 v2, vcc, s20, v0
	s_cselect_b64 s[6:7], -1, 0
	s_lshl_b64 s[24:25], s[24:25], 1
	v_addc_co_u32_e32 v3, vcc, v3, v1, vcc
	s_lshl_b64 s[10:11], s[10:11], 7
	v_mov_b32_e32 v0, 0
	s_xor_b64 s[22:23], s[6:7], -1
	v_cmp_gt_i32_e64 s[0:1], s9, v9
	s_or_b32 s24, s24, 1
	v_mov_b32_e32 v1, 0
	s_mov_b64 s[20:21], 0
	v_mov_b32_e32 v10, s11
	s_branch .LBB7_19
.LBB7_17:                               ;   in Loop: Header=BB7_19 Depth=1
	v_mul_lo_u32 v13, v6, v11
	v_mul_lo_u32 v12, v5, v12
	v_mad_u64_u32 v[5:6], s[28:29], v5, v11, 0
	v_add3_u32 v6, v6, v12, v13
	v_lshlrev_b64 v[11:12], 2, v[5:6]
	v_ashrrev_i32_e32 v5, 31, v4
	v_and_b32_e32 v6, -8, v11
	v_mov_b32_e32 v11, s19
	v_add_co_u32_e32 v6, vcc, s18, v6
	v_lshlrev_b64 v[4:5], 3, v[4:5]
	v_addc_co_u32_e32 v11, vcc, v11, v12, vcc
	v_add_co_u32_e32 v4, vcc, v6, v4
	v_addc_co_u32_e32 v5, vcc, v11, v5, vcc
	flat_load_dwordx2 v[11:12], v[4:5]
	flat_load_dwordx2 v[13:14], v[2:3]
	s_waitcnt vmcnt(0) lgkmcnt(0)
	v_fma_f64 v[0:1], v[11:12], v[13:14], v[0:1]
.LBB7_18:                               ;   in Loop: Header=BB7_19 Depth=1
	s_or_b64 exec, exec, s[26:27]
	v_add_u32_e32 v8, 16, v8
	v_cmp_le_i32_e32 vcc, s9, v8
	s_or_b64 s[20:21], vcc, s[20:21]
	v_add_co_u32_e32 v2, vcc, s10, v2
	v_addc_co_u32_e32 v3, vcc, v3, v10, vcc
	s_andn2_b64 exec, exec, s[20:21]
	s_cbranch_execz .LBB7_24
.LBB7_19:                               ; =>This Inner Loop Header: Depth=1
	s_and_saveexec_b64 s[26:27], s[0:1]
	s_cbranch_execz .LBB7_18
; %bb.20:                               ;   in Loop: Header=BB7_19 Depth=1
	v_cmp_le_i32_e32 vcc, v9, v8
	s_or_b64 s[34:35], s[22:23], vcc
	v_cmp_ge_i32_e32 vcc, v9, v8
	s_or_b64 s[36:37], s[6:7], vcc
	s_and_b64 vcc, s[34:35], s[36:37]
	v_cndmask_b32_e32 v11, v9, v8, vcc
	s_mov_b64 s[28:29], -1
	v_cndmask_b32_e32 v13, v8, v9, vcc
	v_ashrrev_i32_e32 v12, 31, v11
	s_and_b64 vcc, exec, s[22:23]
                                        ; implicit-def: $vgpr5_vgpr6
                                        ; implicit-def: $vgpr4
	s_cbranch_vccz .LBB7_22
; %bb.21:                               ;   in Loop: Header=BB7_19 Depth=1
	v_mov_b32_e32 v4, s25
	v_sub_co_u32_e32 v5, vcc, s24, v11
	v_subb_co_u32_e32 v6, vcc, v4, v12, vcc
	v_sub_u32_e32 v4, v13, v11
	s_mov_b64 s[28:29], 0
.LBB7_22:                               ;   in Loop: Header=BB7_19 Depth=1
	s_andn2_b64 vcc, exec, s[28:29]
	s_cbranch_vccnz .LBB7_17
; %bb.23:                               ;   in Loop: Header=BB7_19 Depth=1
	v_add_co_u32_e32 v5, vcc, 1, v11
	v_addc_co_u32_e32 v6, vcc, 0, v12, vcc
	v_mov_b32_e32 v4, v13
	s_branch .LBB7_17
.LBB7_24:
	s_or_b64 exec, exec, s[20:21]
.LBB7_25:
	s_or_b64 exec, exec, s[4:5]
	v_add_u32_e32 v5, s33, v7
	v_cmp_gt_u32_e32 vcc, 64, v7
	v_cmp_gt_i32_e64 s[0:1], s9, v5
	v_lshlrev_b32_e32 v4, 3, v7
	s_and_b64 s[4:5], vcc, s[0:1]
	ds_write_b64 v4, v[0:1]
	s_waitcnt lgkmcnt(0)
	s_barrier
                                        ; implicit-def: $vgpr0_vgpr1
                                        ; implicit-def: $vgpr2_vgpr3
	s_and_saveexec_b64 s[0:1], s[4:5]
	s_cbranch_execz .LBB7_29
; %bb.26:
	ds_read2st64_b64 v[0:3], v4 offset1:1
	ds_read2st64_b64 v[6:9], v4 offset0:2 offset1:3
	v_cmp_eq_f64_e64 s[4:5], s[12:13], 0
	s_waitcnt lgkmcnt(1)
	v_add_f64 v[0:1], v[0:1], v[2:3]
	s_and_b64 vcc, exec, s[4:5]
	s_waitcnt lgkmcnt(0)
	v_add_f64 v[0:1], v[6:7], v[0:1]
	v_add_f64 v[10:11], v[8:9], v[0:1]
	ds_read2st64_b64 v[0:3], v4 offset0:4 offset1:5
	ds_read2st64_b64 v[6:9], v4 offset0:6 offset1:7
	s_waitcnt lgkmcnt(1)
	v_add_f64 v[0:1], v[0:1], v[10:11]
	v_add_f64 v[0:1], v[2:3], v[0:1]
	s_waitcnt lgkmcnt(0)
	v_add_f64 v[0:1], v[6:7], v[0:1]
	v_add_f64 v[10:11], v[8:9], v[0:1]
	ds_read2st64_b64 v[0:3], v4 offset0:8 offset1:9
	ds_read2st64_b64 v[6:9], v4 offset0:10 offset1:11
	s_waitcnt lgkmcnt(1)
	v_add_f64 v[0:1], v[0:1], v[10:11]
	v_add_f64 v[0:1], v[2:3], v[0:1]
	;; [unrolled: 8-line block ×3, first 2 shown]
	s_waitcnt lgkmcnt(0)
	v_add_f64 v[0:1], v[6:7], v[0:1]
	v_add_f64 v[6:7], v[8:9], v[0:1]
	v_ashrrev_i32_e32 v0, 31, v5
	v_mul_lo_u32 v9, s2, v0
	v_mul_lo_u32 v8, s3, v5
	v_mad_u64_u32 v[2:3], s[2:3], s2, v5, 0
	v_add3_u32 v3, v3, v9, v8
	v_mul_f64 v[0:1], s[14:15], v[6:7]
	ds_write_b64 v4, v[6:7]
	s_cbranch_vccnz .LBB7_28
; %bb.27:
	v_lshlrev_b64 v[4:5], 3, v[2:3]
	v_mov_b32_e32 v6, s31
	v_add_co_u32_e32 v4, vcc, s30, v4
	v_addc_co_u32_e32 v5, vcc, v6, v5, vcc
	flat_load_dwordx2 v[4:5], v[4:5]
	s_waitcnt vmcnt(0) lgkmcnt(0)
	v_fma_f64 v[0:1], s[12:13], v[4:5], v[0:1]
.LBB7_28:
	s_or_b64 s[16:17], s[16:17], exec
.LBB7_29:
	s_or_b64 exec, exec, s[0:1]
.LBB7_30:
	s_and_saveexec_b64 s[0:1], s[16:17]
	s_cbranch_execz .LBB7_32
; %bb.31:
	v_lshlrev_b64 v[2:3], 3, v[2:3]
	v_mov_b32_e32 v4, s31
	v_add_co_u32_e32 v2, vcc, s30, v2
	v_addc_co_u32_e32 v3, vcc, v4, v3, vcc
	flat_store_dwordx2 v[2:3], v[0:1]
.LBB7_32:
	s_endpgm
	.section	.rodata,"a",@progbits
	.p2align	6, 0x0
	.amdhsa_kernel _ZL19rocblas_spmv_kernelILi64ELi16EdPKPKdPKPdEvbiT1_lT2_llS8_lllS7_lT3_llli
		.amdhsa_group_segment_fixed_size 8192
		.amdhsa_private_segment_fixed_size 0
		.amdhsa_kernarg_size 392
		.amdhsa_user_sgpr_count 6
		.amdhsa_user_sgpr_private_segment_buffer 1
		.amdhsa_user_sgpr_dispatch_ptr 0
		.amdhsa_user_sgpr_queue_ptr 0
		.amdhsa_user_sgpr_kernarg_segment_ptr 1
		.amdhsa_user_sgpr_dispatch_id 0
		.amdhsa_user_sgpr_flat_scratch_init 0
		.amdhsa_user_sgpr_private_segment_size 0
		.amdhsa_uses_dynamic_stack 0
		.amdhsa_system_sgpr_private_segment_wavefront_offset 0
		.amdhsa_system_sgpr_workgroup_id_x 1
		.amdhsa_system_sgpr_workgroup_id_y 0
		.amdhsa_system_sgpr_workgroup_id_z 1
		.amdhsa_system_sgpr_workgroup_info 0
		.amdhsa_system_vgpr_workitem_id 1
		.amdhsa_next_free_vgpr 29
		.amdhsa_next_free_sgpr 61
		.amdhsa_reserve_vcc 1
		.amdhsa_reserve_flat_scratch 0
		.amdhsa_float_round_mode_32 0
		.amdhsa_float_round_mode_16_64 0
		.amdhsa_float_denorm_mode_32 3
		.amdhsa_float_denorm_mode_16_64 3
		.amdhsa_dx10_clamp 1
		.amdhsa_ieee_mode 1
		.amdhsa_fp16_overflow 0
		.amdhsa_exception_fp_ieee_invalid_op 0
		.amdhsa_exception_fp_denorm_src 0
		.amdhsa_exception_fp_ieee_div_zero 0
		.amdhsa_exception_fp_ieee_overflow 0
		.amdhsa_exception_fp_ieee_underflow 0
		.amdhsa_exception_fp_ieee_inexact 0
		.amdhsa_exception_int_div_zero 0
	.end_amdhsa_kernel
	.section	.text._ZL19rocblas_spmv_kernelILi64ELi16EdPKPKdPKPdEvbiT1_lT2_llS8_lllS7_lT3_llli,"axG",@progbits,_ZL19rocblas_spmv_kernelILi64ELi16EdPKPKdPKPdEvbiT1_lT2_llS8_lllS7_lT3_llli,comdat
.Lfunc_end7:
	.size	_ZL19rocblas_spmv_kernelILi64ELi16EdPKPKdPKPdEvbiT1_lT2_llS8_lllS7_lT3_llli, .Lfunc_end7-_ZL19rocblas_spmv_kernelILi64ELi16EdPKPKdPKPdEvbiT1_lT2_llS8_lllS7_lT3_llli
                                        ; -- End function
	.set _ZL19rocblas_spmv_kernelILi64ELi16EdPKPKdPKPdEvbiT1_lT2_llS8_lllS7_lT3_llli.num_vgpr, 15
	.set _ZL19rocblas_spmv_kernelILi64ELi16EdPKPKdPKPdEvbiT1_lT2_llS8_lllS7_lT3_llli.num_agpr, 0
	.set _ZL19rocblas_spmv_kernelILi64ELi16EdPKPKdPKPdEvbiT1_lT2_llS8_lllS7_lT3_llli.numbered_sgpr, 38
	.set _ZL19rocblas_spmv_kernelILi64ELi16EdPKPKdPKPdEvbiT1_lT2_llS8_lllS7_lT3_llli.num_named_barrier, 0
	.set _ZL19rocblas_spmv_kernelILi64ELi16EdPKPKdPKPdEvbiT1_lT2_llS8_lllS7_lT3_llli.private_seg_size, 0
	.set _ZL19rocblas_spmv_kernelILi64ELi16EdPKPKdPKPdEvbiT1_lT2_llS8_lllS7_lT3_llli.uses_vcc, 1
	.set _ZL19rocblas_spmv_kernelILi64ELi16EdPKPKdPKPdEvbiT1_lT2_llS8_lllS7_lT3_llli.uses_flat_scratch, 0
	.set _ZL19rocblas_spmv_kernelILi64ELi16EdPKPKdPKPdEvbiT1_lT2_llS8_lllS7_lT3_llli.has_dyn_sized_stack, 0
	.set _ZL19rocblas_spmv_kernelILi64ELi16EdPKPKdPKPdEvbiT1_lT2_llS8_lllS7_lT3_llli.has_recursion, 0
	.set _ZL19rocblas_spmv_kernelILi64ELi16EdPKPKdPKPdEvbiT1_lT2_llS8_lllS7_lT3_llli.has_indirect_call, 0
	.section	.AMDGPU.csdata,"",@progbits
; Kernel info:
; codeLenInByte = 1312
; TotalNumSgprs: 42
; NumVgprs: 15
; ScratchSize: 0
; MemoryBound: 0
; FloatMode: 240
; IeeeMode: 1
; LDSByteSize: 8192 bytes/workgroup (compile time only)
; SGPRBlocks: 8
; VGPRBlocks: 7
; NumSGPRsForWavesPerEU: 65
; NumVGPRsForWavesPerEU: 29
; Occupancy: 8
; WaveLimiterHint : 1
; COMPUTE_PGM_RSRC2:SCRATCH_EN: 0
; COMPUTE_PGM_RSRC2:USER_SGPR: 6
; COMPUTE_PGM_RSRC2:TRAP_HANDLER: 0
; COMPUTE_PGM_RSRC2:TGID_X_EN: 1
; COMPUTE_PGM_RSRC2:TGID_Y_EN: 0
; COMPUTE_PGM_RSRC2:TGID_Z_EN: 1
; COMPUTE_PGM_RSRC2:TIDIG_COMP_CNT: 1
	.section	.AMDGPU.gpr_maximums,"",@progbits
	.set amdgpu.max_num_vgpr, 0
	.set amdgpu.max_num_agpr, 0
	.set amdgpu.max_num_sgpr, 0
	.section	.AMDGPU.csdata,"",@progbits
	.type	__hip_cuid_5e92e14c7f1dcbe,@object ; @__hip_cuid_5e92e14c7f1dcbe
	.section	.bss,"aw",@nobits
	.globl	__hip_cuid_5e92e14c7f1dcbe
__hip_cuid_5e92e14c7f1dcbe:
	.byte	0                               ; 0x0
	.size	__hip_cuid_5e92e14c7f1dcbe, 1

	.ident	"AMD clang version 22.0.0git (https://github.com/RadeonOpenCompute/llvm-project roc-7.2.4 26084 f58b06dce1f9c15707c5f808fd002e18c2accf7e)"
	.section	".note.GNU-stack","",@progbits
	.addrsig
	.addrsig_sym __hip_cuid_5e92e14c7f1dcbe
	.amdgpu_metadata
---
amdhsa.kernels:
  - .args:
      - .offset:         0
        .size:           1
        .value_kind:     by_value
      - .offset:         4
        .size:           4
        .value_kind:     by_value
      - .address_space:  global
        .offset:         8
        .size:           8
        .value_kind:     global_buffer
      - .offset:         16
        .size:           8
        .value_kind:     by_value
      - .actual_access:  read_only
        .address_space:  global
        .offset:         24
        .size:           8
        .value_kind:     global_buffer
      - .offset:         32
        .size:           8
        .value_kind:     by_value
      - .offset:         40
        .size:           8
        .value_kind:     by_value
      - .actual_access:  read_only
        .address_space:  global
        .offset:         48
        .size:           8
        .value_kind:     global_buffer
      - .offset:         56
        .size:           8
        .value_kind:     by_value
      - .offset:         64
        .size:           8
        .value_kind:     by_value
      - .offset:         72
        .size:           8
        .value_kind:     by_value
      - .address_space:  global
        .offset:         80
        .size:           8
        .value_kind:     global_buffer
      - .offset:         88
        .size:           8
        .value_kind:     by_value
      - .address_space:  global
        .offset:         96
        .size:           8
        .value_kind:     global_buffer
      - .offset:         104
        .size:           8
        .value_kind:     by_value
      - .offset:         112
        .size:           8
        .value_kind:     by_value
      - .offset:         120
        .size:           8
        .value_kind:     by_value
      - .offset:         128
        .size:           4
        .value_kind:     by_value
      - .offset:         136
        .size:           4
        .value_kind:     hidden_block_count_x
      - .offset:         140
        .size:           4
        .value_kind:     hidden_block_count_y
      - .offset:         144
        .size:           4
        .value_kind:     hidden_block_count_z
      - .offset:         148
        .size:           2
        .value_kind:     hidden_group_size_x
      - .offset:         150
        .size:           2
        .value_kind:     hidden_group_size_y
      - .offset:         152
        .size:           2
        .value_kind:     hidden_group_size_z
      - .offset:         154
        .size:           2
        .value_kind:     hidden_remainder_x
      - .offset:         156
        .size:           2
        .value_kind:     hidden_remainder_y
      - .offset:         158
        .size:           2
        .value_kind:     hidden_remainder_z
      - .offset:         176
        .size:           8
        .value_kind:     hidden_global_offset_x
      - .offset:         184
        .size:           8
        .value_kind:     hidden_global_offset_y
      - .offset:         192
        .size:           8
        .value_kind:     hidden_global_offset_z
      - .offset:         200
        .size:           2
        .value_kind:     hidden_grid_dims
    .group_segment_fixed_size: 4096
    .kernarg_segment_align: 8
    .kernarg_segment_size: 392
    .language:       OpenCL C
    .language_version:
      - 2
      - 0
    .max_flat_workgroup_size: 1024
    .name:           _ZL19rocblas_spmv_kernelILi64ELi16EPKfS1_PfEvbiT1_lT2_llS4_lllS3_lT3_llli
    .private_segment_fixed_size: 0
    .sgpr_count:     42
    .sgpr_spill_count: 0
    .symbol:         _ZL19rocblas_spmv_kernelILi64ELi16EPKfS1_PfEvbiT1_lT2_llS4_lllS3_lT3_llli.kd
    .uniform_work_group_size: 1
    .uses_dynamic_stack: false
    .vgpr_count:     13
    .vgpr_spill_count: 0
    .wavefront_size: 64
  - .args:
      - .offset:         0
        .size:           1
        .value_kind:     by_value
      - .offset:         4
        .size:           4
        .value_kind:     by_value
      - .offset:         8
        .size:           4
        .value_kind:     by_value
      - .offset:         16
        .size:           8
        .value_kind:     by_value
      - .actual_access:  read_only
        .address_space:  global
        .offset:         24
        .size:           8
        .value_kind:     global_buffer
      - .offset:         32
        .size:           8
        .value_kind:     by_value
      - .offset:         40
        .size:           8
        .value_kind:     by_value
      - .actual_access:  read_only
        .address_space:  global
        .offset:         48
        .size:           8
        .value_kind:     global_buffer
      - .offset:         56
        .size:           8
        .value_kind:     by_value
      - .offset:         64
        .size:           8
        .value_kind:     by_value
      - .offset:         72
        .size:           8
        .value_kind:     by_value
      - .offset:         80
        .size:           4
        .value_kind:     by_value
      - .offset:         88
        .size:           8
        .value_kind:     by_value
      - .address_space:  global
        .offset:         96
        .size:           8
        .value_kind:     global_buffer
      - .offset:         104
        .size:           8
        .value_kind:     by_value
      - .offset:         112
        .size:           8
        .value_kind:     by_value
      - .offset:         120
        .size:           8
        .value_kind:     by_value
      - .offset:         128
        .size:           4
        .value_kind:     by_value
      - .offset:         136
        .size:           4
        .value_kind:     hidden_block_count_x
      - .offset:         140
        .size:           4
        .value_kind:     hidden_block_count_y
      - .offset:         144
        .size:           4
        .value_kind:     hidden_block_count_z
      - .offset:         148
        .size:           2
        .value_kind:     hidden_group_size_x
      - .offset:         150
        .size:           2
        .value_kind:     hidden_group_size_y
      - .offset:         152
        .size:           2
        .value_kind:     hidden_group_size_z
      - .offset:         154
        .size:           2
        .value_kind:     hidden_remainder_x
      - .offset:         156
        .size:           2
        .value_kind:     hidden_remainder_y
      - .offset:         158
        .size:           2
        .value_kind:     hidden_remainder_z
      - .offset:         176
        .size:           8
        .value_kind:     hidden_global_offset_x
      - .offset:         184
        .size:           8
        .value_kind:     hidden_global_offset_y
      - .offset:         192
        .size:           8
        .value_kind:     hidden_global_offset_z
      - .offset:         200
        .size:           2
        .value_kind:     hidden_grid_dims
    .group_segment_fixed_size: 4096
    .kernarg_segment_align: 8
    .kernarg_segment_size: 392
    .language:       OpenCL C
    .language_version:
      - 2
      - 0
    .max_flat_workgroup_size: 1024
    .name:           _ZL19rocblas_spmv_kernelILi64ELi16EfPKfPfEvbiT1_lT2_llS4_lllS3_lT3_llli
    .private_segment_fixed_size: 0
    .sgpr_count:     42
    .sgpr_spill_count: 0
    .symbol:         _ZL19rocblas_spmv_kernelILi64ELi16EfPKfPfEvbiT1_lT2_llS4_lllS3_lT3_llli.kd
    .uniform_work_group_size: 1
    .uses_dynamic_stack: false
    .vgpr_count:     13
    .vgpr_spill_count: 0
    .wavefront_size: 64
  - .args:
      - .offset:         0
        .size:           1
        .value_kind:     by_value
      - .offset:         4
        .size:           4
        .value_kind:     by_value
      - .address_space:  global
        .offset:         8
        .size:           8
        .value_kind:     global_buffer
      - .offset:         16
        .size:           8
        .value_kind:     by_value
      - .actual_access:  read_only
        .address_space:  global
        .offset:         24
        .size:           8
        .value_kind:     global_buffer
      - .offset:         32
        .size:           8
        .value_kind:     by_value
      - .offset:         40
        .size:           8
        .value_kind:     by_value
      - .actual_access:  read_only
        .address_space:  global
        .offset:         48
        .size:           8
        .value_kind:     global_buffer
      - .offset:         56
        .size:           8
        .value_kind:     by_value
      - .offset:         64
        .size:           8
        .value_kind:     by_value
      - .offset:         72
        .size:           8
        .value_kind:     by_value
      - .address_space:  global
        .offset:         80
        .size:           8
        .value_kind:     global_buffer
      - .offset:         88
        .size:           8
        .value_kind:     by_value
      - .address_space:  global
        .offset:         96
        .size:           8
        .value_kind:     global_buffer
      - .offset:         104
        .size:           8
        .value_kind:     by_value
      - .offset:         112
        .size:           8
        .value_kind:     by_value
      - .offset:         120
        .size:           8
        .value_kind:     by_value
      - .offset:         128
        .size:           4
        .value_kind:     by_value
      - .offset:         136
        .size:           4
        .value_kind:     hidden_block_count_x
      - .offset:         140
        .size:           4
        .value_kind:     hidden_block_count_y
      - .offset:         144
        .size:           4
        .value_kind:     hidden_block_count_z
      - .offset:         148
        .size:           2
        .value_kind:     hidden_group_size_x
      - .offset:         150
        .size:           2
        .value_kind:     hidden_group_size_y
      - .offset:         152
        .size:           2
        .value_kind:     hidden_group_size_z
      - .offset:         154
        .size:           2
        .value_kind:     hidden_remainder_x
      - .offset:         156
        .size:           2
        .value_kind:     hidden_remainder_y
      - .offset:         158
        .size:           2
        .value_kind:     hidden_remainder_z
      - .offset:         176
        .size:           8
        .value_kind:     hidden_global_offset_x
      - .offset:         184
        .size:           8
        .value_kind:     hidden_global_offset_y
      - .offset:         192
        .size:           8
        .value_kind:     hidden_global_offset_z
      - .offset:         200
        .size:           2
        .value_kind:     hidden_grid_dims
    .group_segment_fixed_size: 8192
    .kernarg_segment_align: 8
    .kernarg_segment_size: 392
    .language:       OpenCL C
    .language_version:
      - 2
      - 0
    .max_flat_workgroup_size: 1024
    .name:           _ZL19rocblas_spmv_kernelILi64ELi16EPKdS1_PdEvbiT1_lT2_llS4_lllS3_lT3_llli
    .private_segment_fixed_size: 0
    .sgpr_count:     42
    .sgpr_spill_count: 0
    .symbol:         _ZL19rocblas_spmv_kernelILi64ELi16EPKdS1_PdEvbiT1_lT2_llS4_lllS3_lT3_llli.kd
    .uniform_work_group_size: 1
    .uses_dynamic_stack: false
    .vgpr_count:     15
    .vgpr_spill_count: 0
    .wavefront_size: 64
  - .args:
      - .offset:         0
        .size:           1
        .value_kind:     by_value
      - .offset:         4
        .size:           4
        .value_kind:     by_value
      - .offset:         8
        .size:           8
        .value_kind:     by_value
      - .offset:         16
        .size:           8
        .value_kind:     by_value
      - .actual_access:  read_only
        .address_space:  global
        .offset:         24
        .size:           8
        .value_kind:     global_buffer
      - .offset:         32
        .size:           8
        .value_kind:     by_value
      - .offset:         40
        .size:           8
        .value_kind:     by_value
      - .actual_access:  read_only
        .address_space:  global
        .offset:         48
        .size:           8
        .value_kind:     global_buffer
      - .offset:         56
        .size:           8
        .value_kind:     by_value
      - .offset:         64
        .size:           8
        .value_kind:     by_value
      - .offset:         72
        .size:           8
        .value_kind:     by_value
      - .offset:         80
        .size:           8
        .value_kind:     by_value
      - .offset:         88
        .size:           8
        .value_kind:     by_value
      - .address_space:  global
        .offset:         96
        .size:           8
        .value_kind:     global_buffer
      - .offset:         104
        .size:           8
        .value_kind:     by_value
      - .offset:         112
        .size:           8
        .value_kind:     by_value
      - .offset:         120
        .size:           8
        .value_kind:     by_value
      - .offset:         128
        .size:           4
        .value_kind:     by_value
      - .offset:         136
        .size:           4
        .value_kind:     hidden_block_count_x
      - .offset:         140
        .size:           4
        .value_kind:     hidden_block_count_y
      - .offset:         144
        .size:           4
        .value_kind:     hidden_block_count_z
      - .offset:         148
        .size:           2
        .value_kind:     hidden_group_size_x
      - .offset:         150
        .size:           2
        .value_kind:     hidden_group_size_y
      - .offset:         152
        .size:           2
        .value_kind:     hidden_group_size_z
      - .offset:         154
        .size:           2
        .value_kind:     hidden_remainder_x
      - .offset:         156
        .size:           2
        .value_kind:     hidden_remainder_y
      - .offset:         158
        .size:           2
        .value_kind:     hidden_remainder_z
      - .offset:         176
        .size:           8
        .value_kind:     hidden_global_offset_x
      - .offset:         184
        .size:           8
        .value_kind:     hidden_global_offset_y
      - .offset:         192
        .size:           8
        .value_kind:     hidden_global_offset_z
      - .offset:         200
        .size:           2
        .value_kind:     hidden_grid_dims
    .group_segment_fixed_size: 8192
    .kernarg_segment_align: 8
    .kernarg_segment_size: 392
    .language:       OpenCL C
    .language_version:
      - 2
      - 0
    .max_flat_workgroup_size: 1024
    .name:           _ZL19rocblas_spmv_kernelILi64ELi16EdPKdPdEvbiT1_lT2_llS4_lllS3_lT3_llli
    .private_segment_fixed_size: 0
    .sgpr_count:     42
    .sgpr_spill_count: 0
    .symbol:         _ZL19rocblas_spmv_kernelILi64ELi16EdPKdPdEvbiT1_lT2_llS4_lllS3_lT3_llli.kd
    .uniform_work_group_size: 1
    .uses_dynamic_stack: false
    .vgpr_count:     15
    .vgpr_spill_count: 0
    .wavefront_size: 64
  - .args:
      - .offset:         0
        .size:           1
        .value_kind:     by_value
      - .offset:         4
        .size:           4
        .value_kind:     by_value
      - .address_space:  global
        .offset:         8
        .size:           8
        .value_kind:     global_buffer
      - .offset:         16
        .size:           8
        .value_kind:     by_value
      - .actual_access:  read_only
        .address_space:  global
        .offset:         24
        .size:           8
        .value_kind:     global_buffer
      - .offset:         32
        .size:           8
        .value_kind:     by_value
      - .offset:         40
        .size:           8
        .value_kind:     by_value
      - .actual_access:  read_only
        .address_space:  global
        .offset:         48
        .size:           8
        .value_kind:     global_buffer
      - .offset:         56
        .size:           8
        .value_kind:     by_value
      - .offset:         64
        .size:           8
        .value_kind:     by_value
      - .offset:         72
        .size:           8
        .value_kind:     by_value
      - .address_space:  global
        .offset:         80
        .size:           8
        .value_kind:     global_buffer
      - .offset:         88
        .size:           8
        .value_kind:     by_value
      - .actual_access:  read_only
        .address_space:  global
        .offset:         96
        .size:           8
        .value_kind:     global_buffer
      - .offset:         104
        .size:           8
        .value_kind:     by_value
      - .offset:         112
        .size:           8
        .value_kind:     by_value
      - .offset:         120
        .size:           8
        .value_kind:     by_value
      - .offset:         128
        .size:           4
        .value_kind:     by_value
      - .offset:         136
        .size:           4
        .value_kind:     hidden_block_count_x
      - .offset:         140
        .size:           4
        .value_kind:     hidden_block_count_y
      - .offset:         144
        .size:           4
        .value_kind:     hidden_block_count_z
      - .offset:         148
        .size:           2
        .value_kind:     hidden_group_size_x
      - .offset:         150
        .size:           2
        .value_kind:     hidden_group_size_y
      - .offset:         152
        .size:           2
        .value_kind:     hidden_group_size_z
      - .offset:         154
        .size:           2
        .value_kind:     hidden_remainder_x
      - .offset:         156
        .size:           2
        .value_kind:     hidden_remainder_y
      - .offset:         158
        .size:           2
        .value_kind:     hidden_remainder_z
      - .offset:         176
        .size:           8
        .value_kind:     hidden_global_offset_x
      - .offset:         184
        .size:           8
        .value_kind:     hidden_global_offset_y
      - .offset:         192
        .size:           8
        .value_kind:     hidden_global_offset_z
      - .offset:         200
        .size:           2
        .value_kind:     hidden_grid_dims
    .group_segment_fixed_size: 4096
    .kernarg_segment_align: 8
    .kernarg_segment_size: 392
    .language:       OpenCL C
    .language_version:
      - 2
      - 0
    .max_flat_workgroup_size: 1024
    .name:           _ZL19rocblas_spmv_kernelILi64ELi16EPKfPKS1_PKPfEvbiT1_lT2_llS8_lllS7_lT3_llli
    .private_segment_fixed_size: 0
    .sgpr_count:     42
    .sgpr_spill_count: 0
    .symbol:         _ZL19rocblas_spmv_kernelILi64ELi16EPKfPKS1_PKPfEvbiT1_lT2_llS8_lllS7_lT3_llli.kd
    .uniform_work_group_size: 1
    .uses_dynamic_stack: false
    .vgpr_count:     13
    .vgpr_spill_count: 0
    .wavefront_size: 64
  - .args:
      - .offset:         0
        .size:           1
        .value_kind:     by_value
      - .offset:         4
        .size:           4
        .value_kind:     by_value
      - .offset:         8
        .size:           4
        .value_kind:     by_value
      - .offset:         16
        .size:           8
        .value_kind:     by_value
      - .actual_access:  read_only
        .address_space:  global
        .offset:         24
        .size:           8
        .value_kind:     global_buffer
      - .offset:         32
        .size:           8
        .value_kind:     by_value
      - .offset:         40
        .size:           8
        .value_kind:     by_value
      - .actual_access:  read_only
        .address_space:  global
        .offset:         48
        .size:           8
        .value_kind:     global_buffer
      - .offset:         56
        .size:           8
        .value_kind:     by_value
      - .offset:         64
        .size:           8
        .value_kind:     by_value
      - .offset:         72
        .size:           8
        .value_kind:     by_value
      - .offset:         80
        .size:           4
        .value_kind:     by_value
      - .offset:         88
        .size:           8
        .value_kind:     by_value
      - .actual_access:  read_only
        .address_space:  global
        .offset:         96
        .size:           8
        .value_kind:     global_buffer
      - .offset:         104
        .size:           8
        .value_kind:     by_value
      - .offset:         112
        .size:           8
        .value_kind:     by_value
      - .offset:         120
        .size:           8
        .value_kind:     by_value
      - .offset:         128
        .size:           4
        .value_kind:     by_value
      - .offset:         136
        .size:           4
        .value_kind:     hidden_block_count_x
      - .offset:         140
        .size:           4
        .value_kind:     hidden_block_count_y
      - .offset:         144
        .size:           4
        .value_kind:     hidden_block_count_z
      - .offset:         148
        .size:           2
        .value_kind:     hidden_group_size_x
      - .offset:         150
        .size:           2
        .value_kind:     hidden_group_size_y
      - .offset:         152
        .size:           2
        .value_kind:     hidden_group_size_z
      - .offset:         154
        .size:           2
        .value_kind:     hidden_remainder_x
      - .offset:         156
        .size:           2
        .value_kind:     hidden_remainder_y
      - .offset:         158
        .size:           2
        .value_kind:     hidden_remainder_z
      - .offset:         176
        .size:           8
        .value_kind:     hidden_global_offset_x
      - .offset:         184
        .size:           8
        .value_kind:     hidden_global_offset_y
      - .offset:         192
        .size:           8
        .value_kind:     hidden_global_offset_z
      - .offset:         200
        .size:           2
        .value_kind:     hidden_grid_dims
    .group_segment_fixed_size: 4096
    .kernarg_segment_align: 8
    .kernarg_segment_size: 392
    .language:       OpenCL C
    .language_version:
      - 2
      - 0
    .max_flat_workgroup_size: 1024
    .name:           _ZL19rocblas_spmv_kernelILi64ELi16EfPKPKfPKPfEvbiT1_lT2_llS8_lllS7_lT3_llli
    .private_segment_fixed_size: 0
    .sgpr_count:     42
    .sgpr_spill_count: 0
    .symbol:         _ZL19rocblas_spmv_kernelILi64ELi16EfPKPKfPKPfEvbiT1_lT2_llS8_lllS7_lT3_llli.kd
    .uniform_work_group_size: 1
    .uses_dynamic_stack: false
    .vgpr_count:     13
    .vgpr_spill_count: 0
    .wavefront_size: 64
  - .args:
      - .offset:         0
        .size:           1
        .value_kind:     by_value
      - .offset:         4
        .size:           4
        .value_kind:     by_value
      - .address_space:  global
        .offset:         8
        .size:           8
        .value_kind:     global_buffer
      - .offset:         16
        .size:           8
        .value_kind:     by_value
      - .actual_access:  read_only
        .address_space:  global
        .offset:         24
        .size:           8
        .value_kind:     global_buffer
      - .offset:         32
        .size:           8
        .value_kind:     by_value
      - .offset:         40
        .size:           8
        .value_kind:     by_value
      - .actual_access:  read_only
        .address_space:  global
        .offset:         48
        .size:           8
        .value_kind:     global_buffer
      - .offset:         56
        .size:           8
        .value_kind:     by_value
      - .offset:         64
        .size:           8
        .value_kind:     by_value
      - .offset:         72
        .size:           8
        .value_kind:     by_value
      - .address_space:  global
        .offset:         80
        .size:           8
        .value_kind:     global_buffer
      - .offset:         88
        .size:           8
        .value_kind:     by_value
      - .actual_access:  read_only
        .address_space:  global
        .offset:         96
        .size:           8
        .value_kind:     global_buffer
      - .offset:         104
        .size:           8
        .value_kind:     by_value
      - .offset:         112
        .size:           8
        .value_kind:     by_value
      - .offset:         120
        .size:           8
        .value_kind:     by_value
      - .offset:         128
        .size:           4
        .value_kind:     by_value
      - .offset:         136
        .size:           4
        .value_kind:     hidden_block_count_x
      - .offset:         140
        .size:           4
        .value_kind:     hidden_block_count_y
      - .offset:         144
        .size:           4
        .value_kind:     hidden_block_count_z
      - .offset:         148
        .size:           2
        .value_kind:     hidden_group_size_x
      - .offset:         150
        .size:           2
        .value_kind:     hidden_group_size_y
      - .offset:         152
        .size:           2
        .value_kind:     hidden_group_size_z
      - .offset:         154
        .size:           2
        .value_kind:     hidden_remainder_x
      - .offset:         156
        .size:           2
        .value_kind:     hidden_remainder_y
      - .offset:         158
        .size:           2
        .value_kind:     hidden_remainder_z
      - .offset:         176
        .size:           8
        .value_kind:     hidden_global_offset_x
      - .offset:         184
        .size:           8
        .value_kind:     hidden_global_offset_y
      - .offset:         192
        .size:           8
        .value_kind:     hidden_global_offset_z
      - .offset:         200
        .size:           2
        .value_kind:     hidden_grid_dims
    .group_segment_fixed_size: 8192
    .kernarg_segment_align: 8
    .kernarg_segment_size: 392
    .language:       OpenCL C
    .language_version:
      - 2
      - 0
    .max_flat_workgroup_size: 1024
    .name:           _ZL19rocblas_spmv_kernelILi64ELi16EPKdPKS1_PKPdEvbiT1_lT2_llS8_lllS7_lT3_llli
    .private_segment_fixed_size: 0
    .sgpr_count:     42
    .sgpr_spill_count: 0
    .symbol:         _ZL19rocblas_spmv_kernelILi64ELi16EPKdPKS1_PKPdEvbiT1_lT2_llS8_lllS7_lT3_llli.kd
    .uniform_work_group_size: 1
    .uses_dynamic_stack: false
    .vgpr_count:     15
    .vgpr_spill_count: 0
    .wavefront_size: 64
  - .args:
      - .offset:         0
        .size:           1
        .value_kind:     by_value
      - .offset:         4
        .size:           4
        .value_kind:     by_value
      - .offset:         8
        .size:           8
        .value_kind:     by_value
      - .offset:         16
        .size:           8
        .value_kind:     by_value
      - .actual_access:  read_only
        .address_space:  global
        .offset:         24
        .size:           8
        .value_kind:     global_buffer
      - .offset:         32
        .size:           8
        .value_kind:     by_value
      - .offset:         40
        .size:           8
        .value_kind:     by_value
      - .actual_access:  read_only
        .address_space:  global
        .offset:         48
        .size:           8
        .value_kind:     global_buffer
      - .offset:         56
        .size:           8
        .value_kind:     by_value
      - .offset:         64
        .size:           8
        .value_kind:     by_value
      - .offset:         72
        .size:           8
        .value_kind:     by_value
      - .offset:         80
        .size:           8
        .value_kind:     by_value
      - .offset:         88
        .size:           8
        .value_kind:     by_value
      - .actual_access:  read_only
        .address_space:  global
        .offset:         96
        .size:           8
        .value_kind:     global_buffer
      - .offset:         104
        .size:           8
        .value_kind:     by_value
      - .offset:         112
        .size:           8
        .value_kind:     by_value
      - .offset:         120
        .size:           8
        .value_kind:     by_value
      - .offset:         128
        .size:           4
        .value_kind:     by_value
      - .offset:         136
        .size:           4
        .value_kind:     hidden_block_count_x
      - .offset:         140
        .size:           4
        .value_kind:     hidden_block_count_y
      - .offset:         144
        .size:           4
        .value_kind:     hidden_block_count_z
      - .offset:         148
        .size:           2
        .value_kind:     hidden_group_size_x
      - .offset:         150
        .size:           2
        .value_kind:     hidden_group_size_y
      - .offset:         152
        .size:           2
        .value_kind:     hidden_group_size_z
      - .offset:         154
        .size:           2
        .value_kind:     hidden_remainder_x
      - .offset:         156
        .size:           2
        .value_kind:     hidden_remainder_y
      - .offset:         158
        .size:           2
        .value_kind:     hidden_remainder_z
      - .offset:         176
        .size:           8
        .value_kind:     hidden_global_offset_x
      - .offset:         184
        .size:           8
        .value_kind:     hidden_global_offset_y
      - .offset:         192
        .size:           8
        .value_kind:     hidden_global_offset_z
      - .offset:         200
        .size:           2
        .value_kind:     hidden_grid_dims
    .group_segment_fixed_size: 8192
    .kernarg_segment_align: 8
    .kernarg_segment_size: 392
    .language:       OpenCL C
    .language_version:
      - 2
      - 0
    .max_flat_workgroup_size: 1024
    .name:           _ZL19rocblas_spmv_kernelILi64ELi16EdPKPKdPKPdEvbiT1_lT2_llS8_lllS7_lT3_llli
    .private_segment_fixed_size: 0
    .sgpr_count:     42
    .sgpr_spill_count: 0
    .symbol:         _ZL19rocblas_spmv_kernelILi64ELi16EdPKPKdPKPdEvbiT1_lT2_llS8_lllS7_lT3_llli.kd
    .uniform_work_group_size: 1
    .uses_dynamic_stack: false
    .vgpr_count:     15
    .vgpr_spill_count: 0
    .wavefront_size: 64
amdhsa.target:   amdgcn-amd-amdhsa--gfx906
amdhsa.version:
  - 1
  - 2
...

	.end_amdgpu_metadata
